;; amdgpu-corpus repo=ROCm/rocFFT kind=compiled arch=gfx906 opt=O3
	.text
	.amdgcn_target "amdgcn-amd-amdhsa--gfx906"
	.amdhsa_code_object_version 6
	.protected	fft_rtc_fwd_len1904_factors_17_2_2_7_4_wgs_119_tpt_119_halfLds_half_ip_CI_unitstride_sbrr_C2R_dirReg ; -- Begin function fft_rtc_fwd_len1904_factors_17_2_2_7_4_wgs_119_tpt_119_halfLds_half_ip_CI_unitstride_sbrr_C2R_dirReg
	.globl	fft_rtc_fwd_len1904_factors_17_2_2_7_4_wgs_119_tpt_119_halfLds_half_ip_CI_unitstride_sbrr_C2R_dirReg
	.p2align	8
	.type	fft_rtc_fwd_len1904_factors_17_2_2_7_4_wgs_119_tpt_119_halfLds_half_ip_CI_unitstride_sbrr_C2R_dirReg,@function
fft_rtc_fwd_len1904_factors_17_2_2_7_4_wgs_119_tpt_119_halfLds_half_ip_CI_unitstride_sbrr_C2R_dirReg: ; @fft_rtc_fwd_len1904_factors_17_2_2_7_4_wgs_119_tpt_119_halfLds_half_ip_CI_unitstride_sbrr_C2R_dirReg
; %bb.0:
	s_load_dwordx2 s[12:13], s[4:5], 0x50
	s_load_dwordx4 s[8:11], s[4:5], 0x0
	s_load_dwordx2 s[2:3], s[4:5], 0x18
	v_mul_u32_u24_e32 v1, 0x227, v0
	v_add_u32_sdwa v5, s6, v1 dst_sel:DWORD dst_unused:UNUSED_PAD src0_sel:DWORD src1_sel:WORD_1
	v_mov_b32_e32 v3, 0
	s_waitcnt lgkmcnt(0)
	v_cmp_lt_u64_e64 s[0:1], s[10:11], 2
	v_mov_b32_e32 v1, 0
	v_mov_b32_e32 v6, v3
	s_and_b64 vcc, exec, s[0:1]
	v_mov_b32_e32 v2, 0
	s_cbranch_vccnz .LBB0_8
; %bb.1:
	s_load_dwordx2 s[0:1], s[4:5], 0x10
	s_add_u32 s6, s2, 8
	s_addc_u32 s7, s3, 0
	v_mov_b32_e32 v1, 0
	v_mov_b32_e32 v2, 0
	s_waitcnt lgkmcnt(0)
	s_add_u32 s14, s0, 8
	s_addc_u32 s15, s1, 0
	s_mov_b64 s[16:17], 1
.LBB0_2:                                ; =>This Inner Loop Header: Depth=1
	s_load_dwordx2 s[18:19], s[14:15], 0x0
                                        ; implicit-def: $vgpr7_vgpr8
	s_waitcnt lgkmcnt(0)
	v_or_b32_e32 v4, s19, v6
	v_cmp_ne_u64_e32 vcc, 0, v[3:4]
	s_and_saveexec_b64 s[0:1], vcc
	s_xor_b64 s[20:21], exec, s[0:1]
	s_cbranch_execz .LBB0_4
; %bb.3:                                ;   in Loop: Header=BB0_2 Depth=1
	v_cvt_f32_u32_e32 v4, s18
	v_cvt_f32_u32_e32 v7, s19
	s_sub_u32 s0, 0, s18
	s_subb_u32 s1, 0, s19
	v_mac_f32_e32 v4, 0x4f800000, v7
	v_rcp_f32_e32 v4, v4
	v_mul_f32_e32 v4, 0x5f7ffffc, v4
	v_mul_f32_e32 v7, 0x2f800000, v4
	v_trunc_f32_e32 v7, v7
	v_mac_f32_e32 v4, 0xcf800000, v7
	v_cvt_u32_f32_e32 v7, v7
	v_cvt_u32_f32_e32 v4, v4
	v_mul_lo_u32 v8, s0, v7
	v_mul_hi_u32 v9, s0, v4
	v_mul_lo_u32 v11, s1, v4
	v_mul_lo_u32 v10, s0, v4
	v_add_u32_e32 v8, v9, v8
	v_add_u32_e32 v8, v8, v11
	v_mul_hi_u32 v9, v4, v10
	v_mul_lo_u32 v11, v4, v8
	v_mul_hi_u32 v13, v4, v8
	v_mul_hi_u32 v12, v7, v10
	v_mul_lo_u32 v10, v7, v10
	v_mul_hi_u32 v14, v7, v8
	v_add_co_u32_e32 v9, vcc, v9, v11
	v_addc_co_u32_e32 v11, vcc, 0, v13, vcc
	v_mul_lo_u32 v8, v7, v8
	v_add_co_u32_e32 v9, vcc, v9, v10
	v_addc_co_u32_e32 v9, vcc, v11, v12, vcc
	v_addc_co_u32_e32 v10, vcc, 0, v14, vcc
	v_add_co_u32_e32 v8, vcc, v9, v8
	v_addc_co_u32_e32 v9, vcc, 0, v10, vcc
	v_add_co_u32_e32 v4, vcc, v4, v8
	v_addc_co_u32_e32 v7, vcc, v7, v9, vcc
	v_mul_lo_u32 v8, s0, v7
	v_mul_hi_u32 v9, s0, v4
	v_mul_lo_u32 v10, s1, v4
	v_mul_lo_u32 v11, s0, v4
	v_add_u32_e32 v8, v9, v8
	v_add_u32_e32 v8, v8, v10
	v_mul_lo_u32 v12, v4, v8
	v_mul_hi_u32 v13, v4, v11
	v_mul_hi_u32 v14, v4, v8
	;; [unrolled: 1-line block ×3, first 2 shown]
	v_mul_lo_u32 v11, v7, v11
	v_mul_hi_u32 v9, v7, v8
	v_add_co_u32_e32 v12, vcc, v13, v12
	v_addc_co_u32_e32 v13, vcc, 0, v14, vcc
	v_mul_lo_u32 v8, v7, v8
	v_add_co_u32_e32 v11, vcc, v12, v11
	v_addc_co_u32_e32 v10, vcc, v13, v10, vcc
	v_addc_co_u32_e32 v9, vcc, 0, v9, vcc
	v_add_co_u32_e32 v8, vcc, v10, v8
	v_addc_co_u32_e32 v9, vcc, 0, v9, vcc
	v_add_co_u32_e32 v4, vcc, v4, v8
	v_addc_co_u32_e32 v9, vcc, v7, v9, vcc
	v_mad_u64_u32 v[7:8], s[0:1], v5, v9, 0
	v_mul_hi_u32 v10, v5, v4
	v_add_co_u32_e32 v11, vcc, v10, v7
	v_addc_co_u32_e32 v12, vcc, 0, v8, vcc
	v_mad_u64_u32 v[7:8], s[0:1], v6, v4, 0
	v_mad_u64_u32 v[9:10], s[0:1], v6, v9, 0
	v_add_co_u32_e32 v4, vcc, v11, v7
	v_addc_co_u32_e32 v4, vcc, v12, v8, vcc
	v_addc_co_u32_e32 v7, vcc, 0, v10, vcc
	v_add_co_u32_e32 v4, vcc, v4, v9
	v_addc_co_u32_e32 v9, vcc, 0, v7, vcc
	v_mul_lo_u32 v10, s19, v4
	v_mul_lo_u32 v11, s18, v9
	v_mad_u64_u32 v[7:8], s[0:1], s18, v4, 0
	v_add3_u32 v8, v8, v11, v10
	v_sub_u32_e32 v10, v6, v8
	v_mov_b32_e32 v11, s19
	v_sub_co_u32_e32 v7, vcc, v5, v7
	v_subb_co_u32_e64 v10, s[0:1], v10, v11, vcc
	v_subrev_co_u32_e64 v11, s[0:1], s18, v7
	v_subbrev_co_u32_e64 v10, s[0:1], 0, v10, s[0:1]
	v_cmp_le_u32_e64 s[0:1], s19, v10
	v_cndmask_b32_e64 v12, 0, -1, s[0:1]
	v_cmp_le_u32_e64 s[0:1], s18, v11
	v_cndmask_b32_e64 v11, 0, -1, s[0:1]
	v_cmp_eq_u32_e64 s[0:1], s19, v10
	v_cndmask_b32_e64 v10, v12, v11, s[0:1]
	v_add_co_u32_e64 v11, s[0:1], 2, v4
	v_addc_co_u32_e64 v12, s[0:1], 0, v9, s[0:1]
	v_add_co_u32_e64 v13, s[0:1], 1, v4
	v_addc_co_u32_e64 v14, s[0:1], 0, v9, s[0:1]
	v_subb_co_u32_e32 v8, vcc, v6, v8, vcc
	v_cmp_ne_u32_e64 s[0:1], 0, v10
	v_cmp_le_u32_e32 vcc, s19, v8
	v_cndmask_b32_e64 v10, v14, v12, s[0:1]
	v_cndmask_b32_e64 v12, 0, -1, vcc
	v_cmp_le_u32_e32 vcc, s18, v7
	v_cndmask_b32_e64 v7, 0, -1, vcc
	v_cmp_eq_u32_e32 vcc, s19, v8
	v_cndmask_b32_e32 v7, v12, v7, vcc
	v_cmp_ne_u32_e32 vcc, 0, v7
	v_cndmask_b32_e64 v7, v13, v11, s[0:1]
	v_cndmask_b32_e32 v8, v9, v10, vcc
	v_cndmask_b32_e32 v7, v4, v7, vcc
.LBB0_4:                                ;   in Loop: Header=BB0_2 Depth=1
	s_andn2_saveexec_b64 s[0:1], s[20:21]
	s_cbranch_execz .LBB0_6
; %bb.5:                                ;   in Loop: Header=BB0_2 Depth=1
	v_cvt_f32_u32_e32 v4, s18
	s_sub_i32 s20, 0, s18
	v_rcp_iflag_f32_e32 v4, v4
	v_mul_f32_e32 v4, 0x4f7ffffe, v4
	v_cvt_u32_f32_e32 v4, v4
	v_mul_lo_u32 v7, s20, v4
	v_mul_hi_u32 v7, v4, v7
	v_add_u32_e32 v4, v4, v7
	v_mul_hi_u32 v4, v5, v4
	v_mul_lo_u32 v7, v4, s18
	v_add_u32_e32 v8, 1, v4
	v_sub_u32_e32 v7, v5, v7
	v_subrev_u32_e32 v9, s18, v7
	v_cmp_le_u32_e32 vcc, s18, v7
	v_cndmask_b32_e32 v7, v7, v9, vcc
	v_cndmask_b32_e32 v4, v4, v8, vcc
	v_add_u32_e32 v8, 1, v4
	v_cmp_le_u32_e32 vcc, s18, v7
	v_cndmask_b32_e32 v7, v4, v8, vcc
	v_mov_b32_e32 v8, v3
.LBB0_6:                                ;   in Loop: Header=BB0_2 Depth=1
	s_or_b64 exec, exec, s[0:1]
	v_mul_lo_u32 v4, v8, s18
	v_mul_lo_u32 v11, v7, s19
	v_mad_u64_u32 v[9:10], s[0:1], v7, s18, 0
	s_load_dwordx2 s[0:1], s[6:7], 0x0
	s_add_u32 s16, s16, 1
	v_add3_u32 v4, v10, v11, v4
	v_sub_co_u32_e32 v5, vcc, v5, v9
	v_subb_co_u32_e32 v4, vcc, v6, v4, vcc
	s_waitcnt lgkmcnt(0)
	v_mul_lo_u32 v4, s0, v4
	v_mul_lo_u32 v6, s1, v5
	v_mad_u64_u32 v[1:2], s[0:1], s0, v5, v[1:2]
	s_addc_u32 s17, s17, 0
	s_add_u32 s6, s6, 8
	v_add3_u32 v2, v6, v2, v4
	v_mov_b32_e32 v4, s10
	v_mov_b32_e32 v5, s11
	s_addc_u32 s7, s7, 0
	v_cmp_ge_u64_e32 vcc, s[16:17], v[4:5]
	s_add_u32 s14, s14, 8
	s_addc_u32 s15, s15, 0
	s_cbranch_vccnz .LBB0_9
; %bb.7:                                ;   in Loop: Header=BB0_2 Depth=1
	v_mov_b32_e32 v5, v7
	v_mov_b32_e32 v6, v8
	s_branch .LBB0_2
.LBB0_8:
	v_mov_b32_e32 v8, v6
	v_mov_b32_e32 v7, v5
.LBB0_9:
	s_lshl_b64 s[0:1], s[10:11], 3
	s_add_u32 s0, s2, s0
	s_addc_u32 s1, s3, s1
	s_load_dwordx2 s[2:3], s[0:1], 0x0
	s_load_dwordx2 s[6:7], s[4:5], 0x20
	s_waitcnt lgkmcnt(0)
	v_mad_u64_u32 v[1:2], s[0:1], s2, v7, v[1:2]
	v_mul_lo_u32 v3, s2, v8
	v_mul_lo_u32 v4, s3, v7
	s_mov_b32 s0, 0x226b903
	v_mul_hi_u32 v5, v0, s0
	v_cmp_gt_u64_e64 s[0:1], s[6:7], v[7:8]
	v_add3_u32 v2, v4, v2, v3
	v_lshlrev_b64 v[2:3], 2, v[1:2]
	v_mul_u32_u24_e32 v4, 0x77, v5
	v_sub_u32_e32 v0, v0, v4
	s_and_saveexec_b64 s[2:3], s[0:1]
	s_cbranch_execz .LBB0_13
; %bb.10:
	v_mov_b32_e32 v1, 0
	v_mov_b32_e32 v4, s13
	v_add_co_u32_e32 v5, vcc, s12, v2
	v_lshlrev_b64 v[6:7], 2, v[0:1]
	v_addc_co_u32_e32 v4, vcc, v4, v3, vcc
	v_add_co_u32_e32 v6, vcc, v5, v6
	v_addc_co_u32_e32 v7, vcc, v4, v7, vcc
	s_movk_i32 s4, 0x1000
	v_add_co_u32_e32 v8, vcc, s4, v6
	global_load_dword v10, v[6:7], off
	global_load_dword v11, v[6:7], off offset:476
	global_load_dword v12, v[6:7], off offset:952
	;; [unrolled: 1-line block ×7, first 2 shown]
	v_addc_co_u32_e32 v9, vcc, 0, v7, vcc
	global_load_dword v18, v[6:7], off offset:3808
	global_load_dword v19, v[8:9], off offset:188
	;; [unrolled: 1-line block ×8, first 2 shown]
	s_movk_i32 s4, 0x76
	v_lshl_add_u32 v6, v0, 2, 0
	v_cmp_eq_u32_e32 vcc, s4, v0
	v_add_u32_e32 v7, 0x200, v6
	v_add_u32_e32 v8, 0x600, v6
	;; [unrolled: 1-line block ×7, first 2 shown]
	s_waitcnt vmcnt(14)
	ds_write2_b32 v6, v10, v11 offset1:119
	s_waitcnt vmcnt(12)
	ds_write2_b32 v7, v12, v13 offset0:110 offset1:229
	s_waitcnt vmcnt(10)
	ds_write2_b32 v8, v14, v15 offset0:92 offset1:211
	;; [unrolled: 2-line block ×7, first 2 shown]
	s_and_saveexec_b64 s[4:5], vcc
	s_cbranch_execz .LBB0_12
; %bb.11:
	v_add_co_u32_e32 v5, vcc, 0x1000, v5
	v_addc_co_u32_e32 v6, vcc, 0, v4, vcc
	global_load_dword v0, v[5:6], off offset:3520
	s_waitcnt vmcnt(0)
	ds_write_b32 v1, v0 offset:7616
	v_mov_b32_e32 v0, 0x76
.LBB0_12:
	s_or_b64 exec, exec, s[4:5]
.LBB0_13:
	s_or_b64 exec, exec, s[2:3]
	v_lshlrev_b32_e32 v1, 2, v0
	v_add_u32_e32 v20, 0, v1
	s_waitcnt lgkmcnt(0)
	s_barrier
	v_sub_u32_e32 v6, 0, v1
	ds_read_u16 v9, v20
	ds_read_u16 v10, v6 offset:7616
	s_add_u32 s4, s8, 0x1d7c
	s_addc_u32 s5, s9, 0
	v_cmp_ne_u32_e32 vcc, 0, v0
                                        ; implicit-def: $vgpr4_vgpr5
	s_waitcnt lgkmcnt(0)
	v_add_f16_e32 v7, v10, v9
	v_sub_f16_e32 v8, v9, v10
	s_and_saveexec_b64 s[2:3], vcc
	s_xor_b64 s[2:3], exec, s[2:3]
	s_cbranch_execz .LBB0_15
; %bb.14:
	v_mov_b32_e32 v1, 0
	v_lshlrev_b64 v[4:5], 2, v[0:1]
	v_mov_b32_e32 v7, s5
	v_add_co_u32_e32 v4, vcc, s4, v4
	v_addc_co_u32_e32 v5, vcc, v7, v5, vcc
	global_load_dword v4, v[4:5], off
	ds_read_u16 v5, v6 offset:7618
	ds_read_u16 v7, v20 offset:2
	v_add_f16_e32 v8, v10, v9
	v_sub_f16_e32 v9, v9, v10
	s_waitcnt lgkmcnt(0)
	v_add_f16_e32 v10, v5, v7
	v_sub_f16_e32 v5, v7, v5
	s_waitcnt vmcnt(0)
	v_lshrrev_b32_e32 v7, 16, v4
	v_fma_f16 v11, v9, v7, v8
	v_fma_f16 v12, v10, v7, v5
	v_fma_f16 v13, -v9, v7, v8
	v_fma_f16 v5, v10, v7, -v5
	v_fma_f16 v7, -v4, v10, v11
	v_fma_f16 v8, v9, v4, v12
	v_fma_f16 v10, v4, v10, v13
	;; [unrolled: 1-line block ×3, first 2 shown]
	v_pack_b32_f16 v4, v10, v4
	ds_write_b32 v6, v4 offset:7616
	v_mov_b32_e32 v5, v1
	v_mov_b32_e32 v4, v0
.LBB0_15:
	s_andn2_saveexec_b64 s[2:3], s[2:3]
	s_cbranch_execz .LBB0_17
; %bb.16:
	v_mov_b32_e32 v1, 0
	ds_read_b32 v4, v1 offset:3808
	s_mov_b32 s6, 0xc0004000
	s_waitcnt lgkmcnt(0)
	v_pk_mul_f16 v9, v4, s6
	v_mov_b32_e32 v4, 0
	v_mov_b32_e32 v5, 0
	ds_write_b32 v1, v9 offset:3808
.LBB0_17:
	s_or_b64 exec, exec, s[2:3]
	v_lshlrev_b64 v[4:5], 2, v[4:5]
	v_mov_b32_e32 v1, s5
	v_add_co_u32_e32 v4, vcc, s4, v4
	v_addc_co_u32_e32 v5, vcc, v1, v5, vcc
	global_load_dword v1, v[4:5], off offset:476
	global_load_dword v9, v[4:5], off offset:952
	;; [unrolled: 1-line block ×4, first 2 shown]
	s_mov_b32 s4, 0x5040100
	v_perm_b32 v7, v8, v7, s4
	ds_write_b32 v20, v7
	ds_read_b32 v7, v20 offset:476
	ds_read_b32 v8, v6 offset:7140
	global_load_dword v12, v[4:5], off offset:2380
	global_load_dword v13, v[4:5], off offset:2856
	;; [unrolled: 1-line block ×3, first 2 shown]
	v_add_u32_e32 v22, 0x1800, v20
	v_add_u32_e32 v25, 0x200, v20
	s_mov_b32 s21, 0xb5c8
	s_waitcnt lgkmcnt(0)
	v_add_f16_e32 v4, v7, v8
	v_add_f16_sdwa v5, v8, v7 dst_sel:DWORD dst_unused:UNUSED_PAD src0_sel:WORD_1 src1_sel:WORD_1
	v_sub_f16_e32 v15, v7, v8
	v_sub_f16_sdwa v7, v7, v8 dst_sel:DWORD dst_unused:UNUSED_PAD src0_sel:WORD_1 src1_sel:WORD_1
	s_movk_i32 s5, 0x3b76
	s_mov_b32 s27, 0xb964
	s_movk_i32 s6, 0x39e9
	s_mov_b32 s24, 0xbb29
	s_movk_i32 s7, 0x3722
	v_add_u32_e32 v23, 0x1400, v20
	v_add_u32_e32 v27, 0x600, v20
	s_mov_b32 s26, 0xbbf7
	s_movk_i32 s10, 0x2de8
	s_mov_b32 s11, 0xbbb2
	s_mov_b32 s14, 0xb461
	v_add_u32_e32 v28, 0xa00, v20
	v_add_u32_e32 v24, 0x1000, v20
	s_mov_b32 s15, 0xba62
	s_mov_b32 s16, 0xb8d2
	;; [unrolled: 1-line block ×4, first 2 shown]
	v_add_u32_e32 v26, 0xc00, v20
	s_mov_b32 s19, 0xb1e1
	s_mov_b32 s20, 0xbbdd
	s_movk_i32 s2, 0x70
	v_cmp_gt_u32_e32 vcc, s2, v0
	s_waitcnt vmcnt(6)
	v_lshrrev_b32_e32 v8, 16, v1
	v_fma_f16 v16, v15, v8, v4
	v_fma_f16 v17, v5, v8, v7
	v_fma_f16 v4, -v15, v8, v4
	v_fma_f16 v7, v5, v8, -v7
	v_fma_f16 v8, -v1, v5, v16
	v_fma_f16 v16, v15, v1, v17
	v_fma_f16 v4, v1, v5, v4
	v_fma_f16 v1, v15, v1, v7
	v_pack_b32_f16 v5, v8, v16
	v_pack_b32_f16 v1, v4, v1
	ds_write_b32 v20, v5 offset:476
	ds_write_b32 v6, v1 offset:7140
	ds_read_b32 v1, v20 offset:952
	ds_read_b32 v4, v6 offset:6664
	s_waitcnt vmcnt(5)
	v_lshrrev_b32_e32 v5, 16, v9
	s_waitcnt lgkmcnt(0)
	v_add_f16_e32 v7, v1, v4
	v_add_f16_sdwa v8, v4, v1 dst_sel:DWORD dst_unused:UNUSED_PAD src0_sel:WORD_1 src1_sel:WORD_1
	v_sub_f16_e32 v15, v1, v4
	v_sub_f16_sdwa v1, v1, v4 dst_sel:DWORD dst_unused:UNUSED_PAD src0_sel:WORD_1 src1_sel:WORD_1
	v_fma_f16 v4, v15, v5, v7
	v_fma_f16 v16, v8, v5, v1
	v_fma_f16 v7, -v15, v5, v7
	v_fma_f16 v1, v8, v5, -v1
	v_fma_f16 v4, -v9, v8, v4
	v_fma_f16 v5, v15, v9, v16
	v_fma_f16 v7, v9, v8, v7
	v_fma_f16 v1, v15, v9, v1
	v_pack_b32_f16 v4, v4, v5
	v_pack_b32_f16 v1, v7, v1
	ds_write_b32 v20, v4 offset:952
	ds_write_b32 v6, v1 offset:6664
	ds_read_b32 v1, v20 offset:1428
	ds_read_b32 v4, v6 offset:6188
	s_waitcnt vmcnt(4)
	v_lshrrev_b32_e32 v5, 16, v10
	s_waitcnt lgkmcnt(0)
	v_add_f16_e32 v7, v1, v4
	v_add_f16_sdwa v8, v4, v1 dst_sel:DWORD dst_unused:UNUSED_PAD src0_sel:WORD_1 src1_sel:WORD_1
	v_sub_f16_e32 v9, v1, v4
	v_sub_f16_sdwa v1, v1, v4 dst_sel:DWORD dst_unused:UNUSED_PAD src0_sel:WORD_1 src1_sel:WORD_1
	;; [unrolled: 21-line block ×6, first 2 shown]
	v_fma_f16 v4, v9, v5, v7
	v_fma_f16 v10, v8, v5, v1
	v_fma_f16 v7, -v9, v5, v7
	v_fma_f16 v1, v8, v5, -v1
	v_fma_f16 v4, -v14, v8, v4
	v_fma_f16 v5, v9, v14, v10
	v_fma_f16 v7, v14, v8, v7
	;; [unrolled: 1-line block ×3, first 2 shown]
	v_pack_b32_f16 v4, v4, v5
	v_pack_b32_f16 v1, v7, v1
	ds_write_b32 v20, v4 offset:3332
	ds_write_b32 v6, v1 offset:4284
	s_waitcnt lgkmcnt(0)
	s_barrier
	s_barrier
	ds_read2_b32 v[4:5], v20 offset1:112
	ds_read_b32 v36, v20 offset:7168
	ds_read2_b32 v[6:7], v22 offset0:32 offset1:144
	ds_read2_b32 v[16:17], v25 offset0:96 offset1:208
	s_waitcnt lgkmcnt(2)
	v_pk_add_f16 v29, v5, v36 neg_lo:[0,1] neg_hi:[0,1]
	v_pk_add_f16 v32, v36, v5
	v_mul_f16_sdwa v46, v29, s21 dst_sel:DWORD dst_unused:UNUSED_PAD src0_sel:WORD_1 src1_sel:DWORD
	s_waitcnt lgkmcnt(0)
	v_pk_add_f16 v30, v16, v7 neg_lo:[0,1] neg_hi:[0,1]
	v_lshrrev_b32_e32 v52, 16, v32
	v_mul_f16_e32 v51, 0xb5c8, v29
	v_fma_f16 v1, v32, s5, v46
	v_pk_add_f16 v33, v7, v16
	v_mul_f16_sdwa v47, v30, s27 dst_sel:DWORD dst_unused:UNUSED_PAD src0_sel:WORD_1 src1_sel:DWORD
	v_add_f16_e32 v1, v4, v1
	v_fma_f16 v8, v52, s5, -v51
	v_lshrrev_b32_e32 v55, 16, v33
	v_mul_f16_e32 v53, 0xb964, v30
	v_fma_f16 v9, v33, s6, v47
	v_pk_add_f16 v31, v17, v6 neg_lo:[0,1] neg_hi:[0,1]
	v_add_f16_sdwa v8, v4, v8 dst_sel:DWORD dst_unused:UNUSED_PAD src0_sel:WORD_1 src1_sel:DWORD
	v_add_f16_e32 v1, v9, v1
	v_fma_f16 v9, v55, s6, -v53
	v_pk_add_f16 v34, v6, v17
	v_mul_f16_sdwa v48, v31, s24 dst_sel:DWORD dst_unused:UNUSED_PAD src0_sel:WORD_1 src1_sel:DWORD
	v_add_f16_e32 v10, v9, v8
	v_fma_f16 v8, v34, s7, v48
	v_add_f16_e32 v1, v8, v1
	ds_read2_b32 v[8:9], v23 offset0:64 offset1:176
	ds_read2_b32 v[18:19], v27 offset0:64 offset1:176
	v_lshrrev_b32_e32 v58, 16, v34
	v_mul_f16_e32 v57, 0xbb29, v31
	v_fma_f16 v11, v58, s7, -v57
	v_add_f16_e32 v10, v11, v10
	s_waitcnt lgkmcnt(0)
	v_pk_add_f16 v35, v18, v9 neg_lo:[0,1] neg_hi:[0,1]
	v_pk_add_f16 v38, v9, v18
	v_mul_f16_sdwa v49, v35, s26 dst_sel:DWORD dst_unused:UNUSED_PAD src0_sel:WORD_1 src1_sel:DWORD
	v_fma_f16 v11, v38, s10, v49
	v_lshrrev_b32_e32 v62, 16, v38
	v_mul_f16_e32 v61, 0xbbf7, v35
	v_pk_add_f16 v37, v19, v8 neg_lo:[0,1] neg_hi:[0,1]
	v_add_f16_e32 v1, v11, v1
	v_fma_f16 v11, v62, s10, -v61
	v_pk_add_f16 v39, v8, v19
	v_mul_f16_sdwa v50, v37, s11 dst_sel:DWORD dst_unused:UNUSED_PAD src0_sel:WORD_1 src1_sel:DWORD
	v_add_f16_e32 v14, v11, v10
	v_fma_f16 v10, v39, s14, v50
	v_add_f16_e32 v1, v10, v1
	ds_read2_b32 v[12:13], v28 offset0:32 offset1:144
	ds_read2_b32 v[10:11], v24 offset0:96 offset1:208
	v_lshrrev_b32_e32 v64, 16, v39
	v_mul_f16_e32 v63, 0xbbb2, v37
	v_fma_f16 v15, v64, s14, -v63
	v_add_f16_e32 v14, v15, v14
	s_waitcnt lgkmcnt(0)
	v_pk_add_f16 v40, v12, v11 neg_lo:[0,1] neg_hi:[0,1]
	v_pk_add_f16 v42, v11, v12
	v_mul_f16_sdwa v54, v40, s15 dst_sel:DWORD dst_unused:UNUSED_PAD src0_sel:WORD_1 src1_sel:DWORD
	v_fma_f16 v15, v42, s16, v54
	v_lshrrev_b32_e32 v66, 16, v42
	v_mul_f16_e32 v65, 0xba62, v40
	v_pk_add_f16 v41, v13, v10 neg_lo:[0,1] neg_hi:[0,1]
	v_add_f16_e32 v1, v15, v1
	v_fma_f16 v15, v66, s16, -v65
	v_pk_add_f16 v43, v10, v13
	v_mul_f16_sdwa v60, v41, s17 dst_sel:DWORD dst_unused:UNUSED_PAD src0_sel:WORD_1 src1_sel:DWORD
	v_add_f16_e32 v21, v15, v14
	v_fma_f16 v14, v43, s18, v60
	v_add_f16_e32 v1, v14, v1
	ds_read2_b32 v[14:15], v26 offset0:128 offset1:240
	v_lshrrev_b32_e32 v68, 16, v43
	v_mul_f16_e32 v67, 0xb836, v41
	v_fma_f16 v44, v68, s18, -v67
	v_add_f16_e32 v21, v44, v21
	s_waitcnt lgkmcnt(0)
	v_pk_add_f16 v44, v14, v15 neg_lo:[0,1] neg_hi:[0,1]
	v_pk_add_f16 v45, v15, v14
	v_mul_f16_sdwa v56, v44, s19 dst_sel:DWORD dst_unused:UNUSED_PAD src0_sel:WORD_1 src1_sel:DWORD
	v_fma_f16 v59, v45, s20, v56
	v_lshrrev_b32_e32 v70, 16, v45
	v_mul_f16_e32 v69, 0xb1e1, v44
	v_add_f16_e32 v1, v59, v1
	v_fma_f16 v59, v70, s20, -v69
	v_add_f16_e32 v21, v59, v21
	s_barrier
	s_and_saveexec_b64 s[2:3], vcc
	s_cbranch_execz .LBB0_19
; %bb.18:
	v_mul_f16_sdwa v71, v29, s27 dst_sel:DWORD dst_unused:UNUSED_PAD src0_sel:WORD_1 src1_sel:DWORD
	v_fma_f16 v59, v32, s6, v71
	v_mul_f16_sdwa v72, v30, s26 dst_sel:DWORD dst_unused:UNUSED_PAD src0_sel:WORD_1 src1_sel:DWORD
	v_add_f16_e32 v59, v4, v59
	v_fma_f16 v73, v33, s10, v72
	v_add_f16_e32 v59, v73, v59
	v_mul_f16_sdwa v73, v31, s15 dst_sel:DWORD dst_unused:UNUSED_PAD src0_sel:WORD_1 src1_sel:DWORD
	v_fma_f16 v74, v34, s16, v73
	v_add_f16_e32 v59, v74, v59
	v_mul_f16_sdwa v74, v35, s19 dst_sel:DWORD dst_unused:UNUSED_PAD src0_sel:WORD_1 src1_sel:DWORD
	v_fma_f16 v75, v38, s20, v74
	s_movk_i32 s30, 0x3836
	v_add_f16_e32 v59, v75, v59
	v_mul_f16_sdwa v75, v37, s30 dst_sel:DWORD dst_unused:UNUSED_PAD src0_sel:WORD_1 src1_sel:DWORD
	v_fma_f16 v76, v39, s18, v75
	s_movk_i32 s28, 0x3bb2
	;; [unrolled: 4-line block ×4, first 2 shown]
	v_add_f16_e32 v59, v78, v59
	v_mul_f16_sdwa v78, v44, s23 dst_sel:DWORD dst_unused:UNUSED_PAD src0_sel:WORD_1 src1_sel:DWORD
	v_fma_f16 v79, v45, s5, v78
	v_add_f16_e32 v59, v79, v59
	v_mul_f16_e32 v79, 0x3722, v52
	v_fma_f16 v80, v29, s22, v79
	v_add_f16_sdwa v81, v4, v80 dst_sel:DWORD dst_unused:UNUSED_PAD src0_sel:WORD_1 src1_sel:DWORD
	v_mul_f16_e32 v80, 0xb8d2, v55
	s_movk_i32 s29, 0x3a62
	v_fma_f16 v82, v30, s29, v80
	v_add_f16_e32 v82, v82, v81
	v_mul_f16_e32 v81, 0xbbdd, v58
	v_fma_f16 v83, v31, s19, v81
	v_add_f16_e32 v83, v83, v82
	v_mul_f16_e32 v82, 0xb461, v62
	;; [unrolled: 3-line block ×4, first 2 shown]
	v_fma_f16 v86, v40, s23, v84
	v_pk_add_f16 v5, v4, v5
	v_add_f16_e32 v86, v86, v85
	v_mul_f16_e32 v85, 0x2de8, v68
	s_movk_i32 s25, 0x3bf7
	v_pk_add_f16 v5, v5, v16
	v_fma_f16 v87, v41, s25, v85
	v_pk_add_f16 v16, v5, v17
	v_mul_f16_e32 v17, 0xbacd, v70
	v_add_f16_e32 v86, v87, v86
	v_fma_f16 v5, v44, s30, v17
	v_add_f16_e32 v5, v5, v86
	v_mul_f16_e32 v86, 0x2de8, v52
	v_pk_add_f16 v16, v16, v18
	v_pk_add_f16 v18, v16, v19
	v_fma_f16 v16, v29, s25, v86
	v_mul_f16_e32 v19, 0xbbdd, v55
	s_movk_i32 s33, 0x31e1
	v_add_f16_sdwa v16, v4, v16 dst_sel:DWORD dst_unused:UNUSED_PAD src0_sel:WORD_1 src1_sel:DWORD
	v_fma_f16 v87, v30, s33, v19
	v_add_f16_e32 v16, v87, v16
	v_mul_f16_e32 v87, 0xb461, v58
	v_fma_f16 v88, v31, s11, v87
	v_add_f16_e32 v16, v88, v16
	v_mul_f16_e32 v88, 0x3b76, v62
	;; [unrolled: 3-line block ×4, first 2 shown]
	v_fma_f16 v91, v40, s30, v90
	v_add_f16_e32 v16, v91, v16
	v_mul_f16_sdwa v91, v29, s26 dst_sel:DWORD dst_unused:UNUSED_PAD src0_sel:WORD_1 src1_sel:DWORD
	v_fma_f16 v92, v32, s10, v91
	v_mul_f16_sdwa v93, v30, s19 dst_sel:DWORD dst_unused:UNUSED_PAD src0_sel:WORD_1 src1_sel:DWORD
	v_add_f16_e32 v92, v4, v92
	v_fma_f16 v94, v33, s20, v93
	v_add_f16_e32 v92, v94, v92
	v_mul_f16_sdwa v94, v31, s28 dst_sel:DWORD dst_unused:UNUSED_PAD src0_sel:WORD_1 src1_sel:DWORD
	v_fma_f16 v95, v34, s14, v94
	v_add_f16_e32 v92, v95, v92
	v_mul_f16_sdwa v95, v35, s23 dst_sel:DWORD dst_unused:UNUSED_PAD src0_sel:WORD_1 src1_sel:DWORD
	;; [unrolled: 3-line block ×5, first 2 shown]
	v_fma_f16 v99, v43, s16, v98
	s_movk_i32 s31, 0x3964
	v_add_f16_e32 v92, v99, v92
	v_mul_f16_sdwa v99, v44, s31 dst_sel:DWORD dst_unused:UNUSED_PAD src0_sel:WORD_1 src1_sel:DWORD
	v_fma_f16 v100, v45, s6, v99
	v_add_f16_e32 v92, v100, v92
	v_mul_f16_e32 v100, 0xb461, v52
	v_fma_f16 v101, v29, s28, v100
	v_mul_f16_e32 v102, 0xbacd, v55
	v_add_f16_sdwa v101, v4, v101 dst_sel:DWORD dst_unused:UNUSED_PAD src0_sel:WORD_1 src1_sel:DWORD
	v_fma_f16 v103, v30, s17, v102
	v_add_f16_e32 v101, v103, v101
	v_mul_f16_e32 v103, 0x39e9, v58
	v_fma_f16 v104, v31, s27, v103
	v_add_f16_e32 v101, v104, v101
	v_mul_f16_e32 v104, 0x3722, v62
	;; [unrolled: 3-line block ×6, first 2 shown]
	v_fma_f16 v109, v44, s29, v108
	v_add_f16_e32 v101, v109, v101
	v_mul_f16_sdwa v109, v29, s11 dst_sel:DWORD dst_unused:UNUSED_PAD src0_sel:WORD_1 src1_sel:DWORD
	v_fma_f16 v110, v32, s14, v109
	v_mul_f16_sdwa v111, v30, s30 dst_sel:DWORD dst_unused:UNUSED_PAD src0_sel:WORD_1 src1_sel:DWORD
	v_add_f16_e32 v110, v4, v110
	v_fma_f16 v112, v33, s18, v111
	v_add_f16_e32 v110, v112, v110
	v_mul_f16_sdwa v112, v31, s31 dst_sel:DWORD dst_unused:UNUSED_PAD src0_sel:WORD_1 src1_sel:DWORD
	v_fma_f16 v113, v34, s6, v112
	v_add_f16_e32 v110, v113, v110
	v_mul_f16_sdwa v113, v35, s24 dst_sel:DWORD dst_unused:UNUSED_PAD src0_sel:WORD_1 src1_sel:DWORD
	;; [unrolled: 3-line block ×6, first 2 shown]
	v_fma_f16 v118, v45, s16, v117
	v_add_f16_e32 v110, v118, v110
	v_mul_f16_e32 v118, 0xb8d2, v52
	v_fma_f16 v119, v29, s29, v118
	v_mul_f16_e32 v120, 0xb461, v55
	v_add_f16_sdwa v119, v4, v119 dst_sel:DWORD dst_unused:UNUSED_PAD src0_sel:WORD_1 src1_sel:DWORD
	v_fma_f16 v121, v30, s11, v120
	v_add_f16_e32 v119, v121, v119
	v_mul_f16_e32 v121, 0x3b76, v58
	v_fma_f16 v122, v31, s23, v121
	v_add_f16_e32 v119, v122, v119
	v_mul_f16_e32 v122, 0xbacd, v62
	;; [unrolled: 3-line block ×6, first 2 shown]
	v_fma_f16 v127, v44, s24, v126
	v_add_f16_e32 v119, v127, v119
	v_mul_f16_sdwa v127, v29, s15 dst_sel:DWORD dst_unused:UNUSED_PAD src0_sel:WORD_1 src1_sel:DWORD
	v_fma_f16 v128, v32, s16, v127
	v_mul_f16_sdwa v129, v30, s28 dst_sel:DWORD dst_unused:UNUSED_PAD src0_sel:WORD_1 src1_sel:DWORD
	v_add_f16_e32 v128, v4, v128
	v_fma_f16 v130, v33, s14, v129
	v_add_f16_e32 v128, v130, v128
	v_mul_f16_sdwa v130, v31, s21 dst_sel:DWORD dst_unused:UNUSED_PAD src0_sel:WORD_1 src1_sel:DWORD
	v_fma_f16 v131, v34, s5, v130
	v_add_f16_e32 v128, v131, v128
	v_mul_f16_sdwa v131, v35, s17 dst_sel:DWORD dst_unused:UNUSED_PAD src0_sel:WORD_1 src1_sel:DWORD
	;; [unrolled: 3-line block ×6, first 2 shown]
	v_fma_f16 v136, v45, s7, v135
	v_add_f16_e32 v128, v136, v128
	v_mul_f16_e32 v136, 0xbacd, v52
	v_fma_f16 v137, v29, s30, v136
	v_mul_f16_e32 v138, 0x3722, v55
	v_add_f16_sdwa v137, v4, v137 dst_sel:DWORD dst_unused:UNUSED_PAD src0_sel:WORD_1 src1_sel:DWORD
	v_fma_f16 v139, v30, s24, v138
	v_add_f16_e32 v137, v139, v137
	v_mul_f16_e32 v139, 0x2de8, v58
	v_fma_f16 v140, v31, s25, v139
	v_add_f16_e32 v137, v140, v137
	v_mul_f16_e32 v140, 0xb8d2, v62
	;; [unrolled: 3-line block ×5, first 2 shown]
	v_fma_f16 v144, v41, s27, v143
	v_mul_f16_e32 v52, 0x3b76, v52
	v_add_f16_e32 v137, v144, v137
	v_mul_f16_e32 v144, 0xb461, v70
	v_add_f16_e32 v51, v51, v52
	v_mul_f16_e32 v52, 0x39e9, v55
	v_fma_f16 v145, v44, s28, v144
	v_add_f16_e32 v52, v53, v52
	v_mul_f16_e32 v53, 0x3b76, v32
	v_add_f16_sdwa v51, v4, v51 dst_sel:DWORD dst_unused:UNUSED_PAD src0_sel:WORD_1 src1_sel:DWORD
	v_pk_add_f16 v12, v18, v12
	v_add_f16_e32 v137, v145, v137
	v_mul_f16_sdwa v145, v29, s17 dst_sel:DWORD dst_unused:UNUSED_PAD src0_sel:WORD_1 src1_sel:DWORD
	v_fma_f16 v86, v29, s26, v86
	v_add_f16_e32 v51, v52, v51
	v_mul_f16_e32 v52, 0x39e9, v33
	v_mul_f16_e32 v55, 0x3722, v58
	v_sub_f16_e32 v46, v53, v46
	v_pk_add_f16 v12, v12, v13
	v_fma_f16 v146, v32, s18, v145
	v_mul_f16_sdwa v147, v30, s22 dst_sel:DWORD dst_unused:UNUSED_PAD src0_sel:WORD_1 src1_sel:DWORD
	v_fma_f16 v100, v29, s11, v100
	v_add_f16_sdwa v86, v4, v86 dst_sel:DWORD dst_unused:UNUSED_PAD src0_sel:WORD_1 src1_sel:DWORD
	v_fma_f16 v19, v30, s19, v19
	v_add_f16_e32 v55, v57, v55
	v_mul_f16_e32 v57, 0x3722, v34
	v_sub_f16_e32 v47, v52, v47
	v_add_f16_e32 v46, v4, v46
	v_pk_add_f16 v12, v12, v14
	v_add_f16_e32 v146, v4, v146
	v_fma_f16 v148, v33, s7, v147
	v_add_f16_sdwa v100, v4, v100 dst_sel:DWORD dst_unused:UNUSED_PAD src0_sel:WORD_1 src1_sel:DWORD
	v_fma_f16 v102, v30, s30, v102
	v_add_f16_e32 v19, v19, v86
	v_fma_f16 v86, v31, s28, v87
	v_fma_f16 v79, v29, s24, v79
	v_add_f16_e32 v51, v55, v51
	v_mul_f16_e32 v55, 0x2de8, v38
	v_mul_f16_e32 v58, 0x2de8, v62
	v_add_f16_e32 v46, v47, v46
	v_sub_f16_e32 v48, v57, v48
	v_pk_add_f16 v12, v12, v15
	v_add_f16_e32 v146, v148, v146
	v_mul_f16_sdwa v148, v31, s26 dst_sel:DWORD dst_unused:UNUSED_PAD src0_sel:WORD_1 src1_sel:DWORD
	v_fma_f16 v136, v29, s17, v136
	v_add_f16_e32 v100, v102, v100
	v_fma_f16 v102, v31, s31, v103
	v_add_f16_e32 v19, v86, v19
	v_fma_f16 v86, v35, s23, v88
	v_add_f16_sdwa v79, v4, v79 dst_sel:DWORD dst_unused:UNUSED_PAD src0_sel:WORD_1 src1_sel:DWORD
	v_fma_f16 v80, v30, s15, v80
	v_add_f16_e32 v58, v61, v58
	v_mul_f16_e32 v61, 0xb461, v39
	v_mul_f16_e32 v62, 0xb461, v64
	v_add_f16_e32 v46, v48, v46
	v_sub_f16_e32 v49, v55, v49
	v_pk_add_f16 v10, v12, v10
	v_fma_f16 v149, v34, s10, v148
	v_add_f16_sdwa v136, v4, v136 dst_sel:DWORD dst_unused:UNUSED_PAD src0_sel:WORD_1 src1_sel:DWORD
	v_fma_f16 v138, v30, s22, v138
	v_add_f16_e32 v100, v102, v100
	v_fma_f16 v102, v35, s24, v104
	v_add_f16_e32 v19, v86, v19
	;; [unrolled: 2-line block ×4, first 2 shown]
	v_mul_f16_e32 v58, 0xb8d2, v42
	v_mul_f16_e32 v64, 0xb8d2, v66
	v_add_f16_e32 v62, v63, v62
	v_add_f16_e32 v46, v49, v46
	v_sub_f16_e32 v50, v61, v50
	v_pk_add_f16 v10, v10, v11
	v_add_f16_e32 v146, v149, v146
	v_mul_f16_sdwa v149, v35, s29 dst_sel:DWORD dst_unused:UNUSED_PAD src0_sel:WORD_1 src1_sel:DWORD
	v_add_f16_e32 v136, v138, v136
	v_fma_f16 v138, v31, s26, v139
	v_fma_f16 v118, v29, s15, v118
	v_add_f16_e32 v100, v102, v100
	v_fma_f16 v102, v37, s19, v105
	v_add_f16_e32 v19, v86, v19
	;; [unrolled: 2-line block ×3, first 2 shown]
	v_fma_f16 v80, v35, s28, v82
	v_mul_f16_e32 v63, 0xbacd, v43
	v_mul_f16_e32 v66, 0xbacd, v68
	v_add_f16_e32 v51, v62, v51
	v_add_f16_e32 v64, v65, v64
	;; [unrolled: 1-line block ×3, first 2 shown]
	v_sub_f16_e32 v54, v58, v54
	v_pk_add_f16 v8, v10, v8
	v_fma_f16 v150, v38, s16, v149
	v_add_f16_e32 v136, v138, v136
	v_fma_f16 v138, v35, s29, v140
	v_add_f16_sdwa v118, v4, v118 dst_sel:DWORD dst_unused:UNUSED_PAD src0_sel:WORD_1 src1_sel:DWORD
	v_fma_f16 v120, v30, s28, v120
	v_add_f16_e32 v100, v102, v100
	v_fma_f16 v102, v40, s25, v106
	v_add_f16_e32 v19, v86, v19
	v_mul_f16_e32 v86, 0xb8d2, v68
	v_add_f16_e32 v79, v80, v79
	v_fma_f16 v80, v37, s31, v83
	v_mul_f16_e32 v62, 0xbbdd, v45
	v_mul_f16_e32 v68, 0xbbdd, v70
	v_add_f16_e32 v51, v64, v51
	v_add_f16_e32 v66, v67, v66
	;; [unrolled: 1-line block ×3, first 2 shown]
	v_sub_f16_e32 v60, v63, v60
	v_pk_add_f16 v8, v8, v9
	v_add_f16_e32 v146, v150, v146
	v_mul_f16_sdwa v150, v37, s21 dst_sel:DWORD dst_unused:UNUSED_PAD src0_sel:WORD_1 src1_sel:DWORD
	v_add_f16_e32 v136, v138, v136
	v_fma_f16 v138, v37, s21, v141
	v_add_f16_e32 v118, v120, v118
	v_fma_f16 v120, v31, s21, v121
	;; [unrolled: 2-line block ×4, first 2 shown]
	s_mov_b32 s21, 0x39e93722
	v_add_f16_e32 v51, v66, v51
	v_add_f16_e32 v68, v69, v68
	;; [unrolled: 1-line block ×3, first 2 shown]
	v_sub_f16_e32 v56, v62, v56
	v_pk_add_f16 v6, v8, v6
	v_add_f16_e32 v118, v120, v118
	v_fma_f16 v120, v35, s17, v122
	v_pk_mul_f16 v65, v32, s21
	s_mov_b32 s21, 0xbb29b964
	s_mov_b32 s24, 0x2de8b8d2
	v_add_f16_e32 v51, v68, v51
	v_add_f16_e32 v46, v56, v46
	v_pk_add_f16 v6, v6, v7
	v_add_f16_e32 v118, v120, v118
	v_fma_f16 v120, v37, s25, v123
	v_fma_f16 v87, v41, s29, v86
	v_add_f16_e32 v79, v80, v79
	v_fma_f16 v80, v41, s26, v85
	v_pk_fma_f16 v64, v29, s21, v65 op_sel:[0,0,1] op_sel_hi:[1,1,0] neg_lo:[1,0,0] neg_hi:[1,0,0]
	v_pk_mul_f16 v67, v33, s24
	s_mov_b32 s24, 0xba62bbf7
	s_mov_b32 s26, 0xb8d2bbdd
	v_pk_fma_f16 v65, v29, s21, v65 op_sel:[0,0,1] op_sel_hi:[1,1,0]
	v_lshl_add_u32 v56, v0, 6, v20
	v_pk_add_f16 v6, v6, v36
	v_pack_b32_f16 v7, v46, v51
	s_mov_b32 s21, 0xffff
	v_add_f16_e32 v136, v138, v136
	v_fma_f16 v138, v40, s19, v142
	v_add_f16_e32 v118, v120, v118
	v_fma_f16 v120, v40, s27, v124
	v_add_f16_e32 v19, v87, v19
	v_mul_f16_e32 v87, 0x39e9, v70
	v_pk_fma_f16 v66, v30, s24, v67 op_sel:[0,0,1] op_sel_hi:[1,1,0] neg_lo:[1,0,0] neg_hi:[1,0,0]
	v_pk_mul_f16 v69, v34, s26
	s_mov_b32 s26, 0x31e1ba62
	s_mov_b32 s27, 0xbbddb461
	v_pk_fma_f16 v67, v30, s24, v67 op_sel:[0,0,1] op_sel_hi:[1,1,0]
	ds_write2_b32 v56, v6, v7 offset1:1
	v_bfi_b32 v6, s21, v65, v64
	v_add_f16_e32 v136, v138, v136
	v_fma_f16 v138, v41, s31, v143
	v_add_f16_e32 v118, v120, v118
	v_fma_f16 v120, v41, s19, v125
	;; [unrolled: 2-line block ×3, first 2 shown]
	v_fma_f16 v88, v44, s31, v87
	v_fma_f16 v71, v32, s6, -v71
	v_pk_fma_f16 v68, v31, s26, v69 op_sel:[0,0,1] op_sel_hi:[1,1,0] neg_lo:[1,0,0] neg_hi:[1,0,0]
	v_pk_mul_f16 v53, v38, s27
	s_mov_b32 s27, 0x3bb2b1e1
	s_mov_b32 s28, 0xbacd39e9
	v_pk_fma_f16 v69, v31, s26, v69 op_sel:[0,0,1] op_sel_hi:[1,1,0]
	v_pk_add_f16 v6, v4, v6 op_sel:[1,0] op_sel_hi:[0,1]
	v_bfi_b32 v7, s21, v67, v66
	v_add_f16_e32 v136, v138, v136
	v_fma_f16 v138, v44, s11, v144
	v_add_f16_e32 v118, v120, v118
	v_fma_f16 v120, v44, s22, v126
	v_add_f16_e32 v100, v102, v100
	v_fma_f16 v102, v32, s14, -v109
	v_add_f16_e32 v19, v88, v19
	v_fma_f16 v88, v32, s10, -v91
	;; [unrolled: 2-line block ×3, first 2 shown]
	v_pk_fma_f16 v52, v35, s27, v53 op_sel:[0,0,1] op_sel_hi:[1,1,0] neg_lo:[1,0,0] neg_hi:[1,0,0]
	v_pk_mul_f16 v47, v39, s28
	s_mov_b32 s28, 0x39643836
	s_mov_b32 s29, 0xb4613b76
	v_pk_fma_f16 v53, v35, s27, v53 op_sel:[0,0,1] op_sel_hi:[1,1,0]
	v_pk_add_f16 v6, v7, v6
	v_bfi_b32 v7, s21, v69, v68
	v_add_f16_e32 v136, v138, v136
	v_fma_f16 v138, v32, s18, -v145
	v_add_f16_e32 v118, v120, v118
	v_fma_f16 v120, v32, s16, -v127
	;; [unrolled: 2-line block ×5, first 2 shown]
	v_pk_fma_f16 v57, v37, s28, v47 op_sel:[0,0,1] op_sel_hi:[1,1,0] neg_lo:[1,0,0] neg_hi:[1,0,0]
	v_pk_mul_f16 v48, v42, s29
	s_mov_b32 s29, 0xb5c83bb2
	s_mov_b32 s30, 0x37222de8
	v_pk_fma_f16 v47, v37, s28, v47 op_sel:[0,0,1] op_sel_hi:[1,1,0]
	v_pk_add_f16 v6, v7, v6
	v_bfi_b32 v7, s21, v53, v52
	v_fma_f16 v151, v39, s5, v150
	v_add_f16_e32 v138, v4, v138
	v_fma_f16 v139, v33, s7, -v147
	v_add_f16_e32 v120, v4, v120
	v_fma_f16 v121, v33, s14, -v129
	;; [unrolled: 2-line block ×5, first 2 shown]
	v_pk_fma_f16 v55, v40, s29, v48 op_sel:[0,0,1] op_sel_hi:[1,1,0] neg_lo:[1,0,0] neg_hi:[1,0,0]
	v_pk_mul_f16 v49, v43, s30
	s_mov_b32 s30, 0xbbf73b29
	v_pk_fma_f16 v48, v40, s29, v48 op_sel:[0,0,1] op_sel_hi:[1,1,0]
	v_pk_add_f16 v6, v7, v6
	v_bfi_b32 v7, s21, v47, v57
	v_add_f16_e32 v146, v151, v146
	v_mul_f16_sdwa v151, v40, s19 dst_sel:DWORD dst_unused:UNUSED_PAD src0_sel:WORD_1 src1_sel:DWORD
	v_add_f16_e32 v138, v139, v138
	v_fma_f16 v139, v34, s10, -v148
	v_add_f16_e32 v120, v121, v120
	v_fma_f16 v121, v34, s5, -v130
	;; [unrolled: 2-line block ×5, first 2 shown]
	v_pk_fma_f16 v61, v41, s30, v49 op_sel:[0,0,1] op_sel_hi:[1,1,0] neg_lo:[1,0,0] neg_hi:[1,0,0]
	s_mov_b32 s33, 0x3b76bacd
	v_pk_fma_f16 v49, v41, s30, v49 op_sel:[0,0,1] op_sel_hi:[1,1,0]
	v_pk_add_f16 v6, v7, v6
	v_bfi_b32 v7, s21, v48, v55
	v_fma_f16 v152, v42, s20, v151
	v_add_f16_e32 v138, v139, v138
	v_fma_f16 v139, v38, s16, -v149
	v_add_f16_e32 v120, v121, v120
	v_fma_f16 v121, v38, s18, -v131
	;; [unrolled: 2-line block ×5, first 2 shown]
	v_pk_mul_f16 v50, v45, s33
	s_mov_b32 s33, 0xb83635c8
	v_pk_add_f16 v6, v7, v6
	v_bfi_b32 v7, s21, v49, v61
	v_add_f16_e32 v146, v152, v146
	v_mul_f16_sdwa v152, v41, s31 dst_sel:DWORD dst_unused:UNUSED_PAD src0_sel:WORD_1 src1_sel:DWORD
	v_add_f16_e32 v138, v139, v138
	v_fma_f16 v139, v39, s5, -v150
	v_add_f16_e32 v120, v121, v120
	v_fma_f16 v121, v39, s10, -v132
	;; [unrolled: 2-line block ×5, first 2 shown]
	v_pk_fma_f16 v54, v44, s33, v50 op_sel:[0,0,1] op_sel_hi:[1,1,0] neg_lo:[1,0,0] neg_hi:[1,0,0]
	v_pk_add_f16 v6, v7, v6
	v_pk_fma_f16 v7, v44, s33, v50 op_sel:[0,0,1] op_sel_hi:[1,1,0]
	v_fma_f16 v153, v43, s6, v152
	v_add_f16_e32 v138, v139, v138
	v_fma_f16 v139, v42, s20, -v151
	v_add_f16_e32 v120, v121, v120
	v_fma_f16 v121, v42, s6, -v133
	;; [unrolled: 2-line block ×4, first 2 shown]
	v_add_f16_e32 v79, v80, v79
	v_fma_f16 v17, v44, s17, v17
	v_add_f16_e32 v71, v72, v71
	v_fma_f16 v72, v45, s5, -v78
	v_bfi_b32 v7, s21, v7, v54
	v_add_f16_e32 v146, v153, v146
	v_mul_f16_sdwa v153, v44, s11 dst_sel:DWORD dst_unused:UNUSED_PAD src0_sel:WORD_1 src1_sel:DWORD
	v_add_f16_e32 v138, v139, v138
	v_fma_f16 v139, v43, s6, -v152
	v_add_f16_e32 v120, v121, v120
	v_fma_f16 v121, v43, s20, -v134
	;; [unrolled: 2-line block ×4, first 2 shown]
	v_add_f16_e32 v17, v17, v79
	v_add_f16_e32 v71, v72, v71
	v_pk_add_f16 v6, v7, v6
	v_add_f16_e32 v138, v139, v138
	v_fma_f16 v139, v45, s14, -v153
	v_add_f16_e32 v120, v121, v120
	v_fma_f16 v121, v45, s7, -v135
	v_add_f16_e32 v102, v103, v102
	v_add_f16_e32 v88, v89, v88
	v_alignbit_b32 v7, v17, v6, 16
	v_pack_b32_f16 v6, v71, v6
	v_add_f16_e32 v138, v139, v138
	v_add_f16_e32 v120, v121, v120
	ds_write2_b32 v56, v6, v7 offset0:2 offset1:3
	v_pack_b32_f16 v6, v102, v100
	v_pack_b32_f16 v7, v88, v19
	ds_write2_b32 v56, v7, v6 offset0:4 offset1:5
	v_pack_b32_f16 v6, v138, v136
	v_pack_b32_f16 v7, v120, v118
	ds_write2_b32 v56, v7, v6 offset0:6 offset1:7
	v_pk_mul_f16 v6, v32, s20 op_sel_hi:[1,0]
	v_pk_fma_f16 v7, v29, s19, v6 op_sel:[0,0,1] op_sel_hi:[1,0,0] neg_lo:[1,0,0] neg_hi:[1,0,0]
	v_pk_mul_f16 v8, v33, s5 op_sel_hi:[1,0]
	v_pk_add_f16 v7, v4, v7 op_sel:[1,0] op_sel_hi:[0,1]
	v_pk_fma_f16 v9, v30, s23, v8 op_sel:[0,0,1] op_sel_hi:[1,0,0] neg_lo:[1,0,0] neg_hi:[1,0,0]
	v_pk_add_f16 v7, v9, v7
	v_pk_mul_f16 v9, v34, s18 op_sel_hi:[1,0]
	v_pk_fma_f16 v10, v31, s17, v9 op_sel:[0,0,1] op_sel_hi:[1,0,0] neg_lo:[1,0,0] neg_hi:[1,0,0]
	v_pk_add_f16 v7, v10, v7
	v_pk_mul_f16 v10, v38, s6 op_sel_hi:[1,0]
	;; [unrolled: 3-line block ×3, first 2 shown]
	v_pk_fma_f16 v6, v29, s19, v6 op_sel:[0,0,1] op_sel_hi:[1,0,0]
	v_add_f16_sdwa v63, v4, v64 dst_sel:DWORD dst_unused:UNUSED_PAD src0_sel:WORD_1 src1_sel:DWORD
	v_pk_add_f16 v60, v4, v65 op_sel:[1,0] op_sel_hi:[0,1]
	v_pk_fma_f16 v12, v37, s15, v11 op_sel:[0,0,1] op_sel_hi:[1,0,0] neg_lo:[1,0,0] neg_hi:[1,0,0]
	v_pk_add_f16 v4, v4, v6 op_sel:[1,0] op_sel_hi:[0,1]
	v_pk_fma_f16 v6, v30, s23, v8 op_sel:[0,0,1] op_sel_hi:[1,0,0]
	v_pk_add_f16 v7, v12, v7
	v_pk_mul_f16 v12, v42, s7 op_sel_hi:[1,0]
	v_pk_add_f16 v4, v6, v4
	v_pk_fma_f16 v6, v31, s17, v9 op_sel:[0,0,1] op_sel_hi:[1,0,0]
	v_pk_fma_f16 v13, v40, s22, v12 op_sel:[0,0,1] op_sel_hi:[1,0,0] neg_lo:[1,0,0] neg_hi:[1,0,0]
	v_pk_add_f16 v4, v6, v4
	v_pk_fma_f16 v6, v35, s31, v10 op_sel:[0,0,1] op_sel_hi:[1,0,0]
	v_pk_add_f16 v7, v13, v7
	v_pk_mul_f16 v13, v43, s14 op_sel_hi:[1,0]
	v_pk_add_f16 v4, v6, v4
	v_pk_fma_f16 v6, v37, s15, v11 op_sel:[0,0,1] op_sel_hi:[1,0,0]
	v_pk_fma_f16 v14, v41, s11, v13 op_sel:[0,0,1] op_sel_hi:[1,0,0] neg_lo:[1,0,0] neg_hi:[1,0,0]
	v_pk_add_f16 v4, v6, v4
	;; [unrolled: 7-line block ×3, first 2 shown]
	v_pk_fma_f16 v6, v44, s25, v14 op_sel:[0,0,1] op_sel_hi:[1,0,0]
	v_fma_f16 v154, v45, s14, v153
	v_pk_add_f16 v60, v67, v60
	v_pk_add_f16 v7, v15, v7
	;; [unrolled: 1-line block ×3, first 2 shown]
	v_add_f16_e32 v146, v154, v146
	v_pk_add_f16 v60, v69, v60
	v_alignbit_b32 v6, v7, v4, 16
	v_alignbit_b32 v4, v4, v7, 16
	v_pk_add_f16 v60, v53, v60
	ds_write2_b32 v56, v4, v6 offset0:8 offset1:9
	v_pack_b32_f16 v4, v128, v119
	v_pack_b32_f16 v6, v146, v137
	v_pk_mul_f16 v58, v44, s33
	v_add_f16_e32 v63, v66, v63
	v_pk_add_f16 v60, v47, v60
	v_fma_f16 v70, v41, s15, v86
	ds_write2_b32 v56, v6, v4 offset0:10 offset1:11
	v_pack_b32_f16 v4, v110, v101
	v_add_f16_e32 v63, v68, v63
	v_pk_add_f16 v60, v48, v60
	v_mul_f16_e32 v62, 0x3964, v44
	ds_write_b32 v56, v4 offset:48
	v_pack_b32_f16 v4, v70, v50
	v_bfi_b32 v6, s21, v16, v58
	v_add_f16_e32 v63, v52, v63
	v_pk_add_f16 v4, v4, v6
	v_bfi_b32 v6, s21, v62, v60
	v_add_f16_e32 v63, v57, v63
	v_pk_add_f16 v6, v87, v6 neg_lo:[0,1] neg_hi:[0,1]
	v_pk_add_f16 v7, v49, v60
	v_add_f16_e32 v63, v55, v63
	v_bfi_b32 v6, s21, v6, v7
	v_add_f16_e32 v63, v61, v63
	v_pk_add_f16 v4, v6, v4
	v_add_f16_e32 v63, v54, v63
	v_alignbit_b32 v5, v5, v4, 16
	v_pack_b32_f16 v4, v92, v4
	ds_write2_b32 v56, v4, v5 offset0:13 offset1:14
	v_pack_b32_f16 v4, v59, v63
	v_perm_b32 v5, v21, v1, s4
	ds_write2_b32 v56, v4, v5 offset0:15 offset1:16
.LBB0_19:
	s_or_b64 exec, exec, s[2:3]
	v_add_u32_e32 v33, 0x2ca, v0
	s_mov_b32 s2, 0xf0f1
	v_mul_u32_u24_sdwa v35, v33, s2 dst_sel:DWORD dst_unused:UNUSED_PAD src0_sel:WORD_0 src1_sel:DWORD
	v_add_u32_e32 v34, 0x341, v0
	v_lshrrev_b32_e32 v31, 20, v35
	v_mul_lo_u16_e32 v4, 17, v31
	v_mul_u32_u24_sdwa v36, v34, s2 dst_sel:DWORD dst_unused:UNUSED_PAD src0_sel:WORD_0 src1_sel:DWORD
	v_sub_u16_e32 v4, v33, v4
	v_lshrrev_b32_e32 v37, 20, v36
	v_add_u32_e32 v41, 0x253, v0
	v_lshlrev_b32_e32 v32, 2, v4
	v_mul_lo_u16_e32 v4, 17, v37
	v_mul_u32_u24_sdwa v42, v41, s2 dst_sel:DWORD dst_unused:UNUSED_PAD src0_sel:WORD_0 src1_sel:DWORD
	v_sub_u16_e32 v4, v34, v4
	v_lshrrev_b32_e32 v16, 20, v42
	v_add_u32_e32 v44, 0x1dc, v0
	v_lshlrev_b32_e32 v38, 2, v4
	v_mul_lo_u16_e32 v4, 17, v16
	v_mul_u32_u24_sdwa v45, v44, s2 dst_sel:DWORD dst_unused:UNUSED_PAD src0_sel:WORD_0 src1_sel:DWORD
	v_sub_u16_e32 v4, v41, v4
	v_lshrrev_b32_e32 v46, 20, v45
	v_add_u32_e32 v49, 0x165, v0
	s_waitcnt lgkmcnt(0)
	s_barrier
	global_load_dword v39, v38, s[8:9]
	global_load_dword v40, v32, s[8:9]
	v_lshlrev_b32_e32 v17, 2, v4
	v_mul_lo_u16_e32 v4, 17, v46
	v_mul_u32_u24_sdwa v51, v49, s2 dst_sel:DWORD dst_unused:UNUSED_PAD src0_sel:WORD_0 src1_sel:DWORD
	v_sub_u16_e32 v4, v44, v4
	v_add_u32_e32 v18, 0xee, v0
	v_lshrrev_b32_e32 v52, 20, v51
	v_lshlrev_b32_e32 v47, 2, v4
	v_mul_lo_u16_e32 v4, 17, v52
	v_mul_u32_u24_sdwa v19, v18, s2 dst_sel:DWORD dst_unused:UNUSED_PAD src0_sel:WORD_0 src1_sel:DWORD
	s_movk_i32 s3, 0xf1
	v_add_u16_e32 v30, 0x77, v0
	v_sub_u16_e32 v4, v49, v4
	v_lshrrev_b32_e32 v55, 20, v19
	v_mul_lo_u16_sdwa v50, v30, s3 dst_sel:DWORD dst_unused:UNUSED_PAD src0_sel:BYTE_0 src1_sel:DWORD
	v_lshlrev_b32_e32 v53, 2, v4
	v_mul_lo_u16_e32 v4, 17, v55
	v_sub_u16_e32 v4, v18, v4
	v_lshrrev_b16_e32 v58, 12, v50
	global_load_dword v43, v17, s[8:9]
	global_load_dword v48, v47, s[8:9]
	;; [unrolled: 1-line block ×3, first 2 shown]
	v_lshlrev_b32_e32 v56, 2, v4
	global_load_dword v57, v56, s[8:9]
	v_mul_lo_u16_e32 v4, 17, v58
	v_mul_lo_u16_sdwa v61, v0, s3 dst_sel:DWORD dst_unused:UNUSED_PAD src0_sel:BYTE_0 src1_sel:DWORD
	v_sub_u16_e32 v4, v30, v4
	v_mov_b32_e32 v29, 2
	v_lshrrev_b16_e32 v62, 12, v61
	v_lshlrev_b32_sdwa v59, v29, v4 dst_sel:DWORD dst_unused:UNUSED_PAD src0_sel:DWORD src1_sel:BYTE_0
	global_load_dword v60, v59, s[8:9]
	v_mul_lo_u16_e32 v4, 17, v62
	v_sub_u16_e32 v4, v0, v4
	v_lshlrev_b32_sdwa v63, v29, v4 dst_sel:DWORD dst_unused:UNUSED_PAD src0_sel:DWORD src1_sel:BYTE_0
	global_load_dword v64, v63, s[8:9]
	v_add_u32_e32 v65, 0xe00, v20
	v_add_u32_e32 v66, 0x1200, v20
	v_mul_u32_u24_e32 v46, 0x88, v46
	v_mul_u32_u24_e32 v16, 0x88, v16
	ds_read2_b32 v[4:5], v20 offset1:119
	ds_read2_b32 v[6:7], v65 offset0:56 offset1:175
	ds_read2_b32 v[8:9], v25 offset0:110 offset1:229
	;; [unrolled: 1-line block ×5, first 2 shown]
	v_add3_u32 v46, 0, v46, v47
	v_add3_u32 v47, 0, v16, v17
	ds_read2_b32 v[16:17], v22 offset0:130 offset1:249
	v_mul_u32_u24_e32 v52, 0x88, v52
	v_mul_u32_u24_e32 v31, 0x88, v31
	v_add3_u32 v52, 0, v52, v53
	v_add3_u32 v53, 0, v31, v32
	v_mul_u32_u24_e32 v31, 0x88, v37
	v_mul_u32_u24_e32 v55, 0x88, v55
	v_add3_u32 v37, 0, v31, v38
	s_mov_b32 s2, 0xffff
	v_add3_u32 v55, 0, v55, v56
	v_add_u32_e32 v56, 0x1600, v20
	v_mul_u32_u24_e32 v62, 0x88, v62
	v_add3_u32 v62, 0, v62, v63
	v_mul_u32_u24_e32 v58, 0x88, v58
	v_add3_u32 v58, 0, v58, v59
	v_lshrrev_b32_e32 v35, 21, v35
	v_cmp_gt_u32_e32 vcc, 34, v0
	s_waitcnt vmcnt(7) lgkmcnt(0)
	v_pk_mul_f16 v31, v17, v39 op_sel:[0,1]
	v_pk_fma_f16 v32, v17, v39, v31 op_sel:[0,0,1] op_sel_hi:[1,1,0] neg_lo:[0,0,1] neg_hi:[0,0,1]
	v_pk_fma_f16 v17, v17, v39, v31 op_sel:[0,0,1] op_sel_hi:[1,0,0]
	v_bfi_b32 v17, s2, v32, v17
	ds_read2_b32 v[31:32], v56 offset0:20 offset1:139
	s_waitcnt vmcnt(6)
	v_pk_mul_f16 v38, v16, v40 op_sel:[0,1]
	v_pk_fma_f16 v39, v16, v40, v38 op_sel:[0,0,1] op_sel_hi:[1,1,0] neg_lo:[0,0,1] neg_hi:[0,0,1]
	v_pk_fma_f16 v16, v16, v40, v38 op_sel:[0,0,1] op_sel_hi:[1,0,0]
	v_bfi_b32 v16, s2, v39, v16
	v_pk_add_f16 v17, v15, v17 neg_lo:[0,1] neg_hi:[0,1]
	v_pk_add_f16 v16, v14, v16 neg_lo:[0,1] neg_hi:[0,1]
	v_pk_fma_f16 v15, v15, 2.0, v17 op_sel_hi:[1,0,1] neg_lo:[0,0,1] neg_hi:[0,0,1]
	v_pk_fma_f16 v14, v14, 2.0, v16 op_sel_hi:[1,0,1] neg_lo:[0,0,1] neg_hi:[0,0,1]
	s_waitcnt vmcnt(0) lgkmcnt(0)
	s_barrier
	v_pk_mul_f16 v38, v32, v43 op_sel:[0,1]
	v_pk_fma_f16 v39, v32, v43, v38 op_sel:[0,0,1] op_sel_hi:[1,1,0] neg_lo:[0,0,1] neg_hi:[0,0,1]
	v_pk_fma_f16 v32, v32, v43, v38 op_sel:[0,0,1] op_sel_hi:[1,0,0]
	v_pk_mul_f16 v38, v31, v48 op_sel:[0,1]
	v_bfi_b32 v32, s2, v39, v32
	v_pk_fma_f16 v39, v31, v48, v38 op_sel:[0,0,1] op_sel_hi:[1,1,0] neg_lo:[0,0,1] neg_hi:[0,0,1]
	v_pk_fma_f16 v31, v31, v48, v38 op_sel:[0,0,1] op_sel_hi:[1,0,0]
	v_pk_mul_f16 v38, v54, v11 op_sel:[0,1]
	v_bfi_b32 v31, s2, v39, v31
	;; [unrolled: 4-line block ×5, first 2 shown]
	v_pk_fma_f16 v39, v64, v6, v38 op_sel:[0,0,1] op_sel_hi:[1,1,0] neg_lo:[0,0,1] neg_hi:[0,0,1]
	v_pk_fma_f16 v6, v64, v6, v38 op_sel:[0,0,1] op_sel_hi:[1,0,0]
	v_bfi_b32 v6, s2, v39, v6
	v_pk_add_f16 v6, v4, v6 neg_lo:[0,1] neg_hi:[0,1]
	v_pk_add_f16 v32, v13, v32 neg_lo:[0,1] neg_hi:[0,1]
	;; [unrolled: 1-line block ×6, first 2 shown]
	v_pk_fma_f16 v4, v4, 2.0, v6 op_sel_hi:[1,0,1] neg_lo:[0,0,1] neg_hi:[0,0,1]
	v_pk_fma_f16 v13, v13, 2.0, v32 op_sel_hi:[1,0,1] neg_lo:[0,0,1] neg_hi:[0,0,1]
	;; [unrolled: 1-line block ×6, first 2 shown]
	ds_write2_b32 v62, v4, v6 offset1:17
	ds_write2_b32 v58, v5, v7 offset1:17
	;; [unrolled: 1-line block ×8, first 2 shown]
	v_lshrrev_b32_e32 v31, 21, v36
	v_mul_lo_u16_e32 v4, 34, v31
	v_sub_u16_e32 v4, v34, v4
	v_lshlrev_b32_e32 v32, 2, v4
	v_mul_lo_u16_e32 v4, 34, v35
	v_sub_u16_e32 v4, v33, v4
	v_lshrrev_b32_e32 v16, 21, v42
	v_lshlrev_b32_e32 v33, 2, v4
	v_mul_lo_u16_e32 v4, 34, v16
	v_sub_u16_e32 v4, v41, v4
	v_lshrrev_b32_e32 v38, 21, v45
	;; [unrolled: 4-line block ×4, first 2 shown]
	v_lshlrev_b32_e32 v42, 2, v4
	v_mul_lo_u16_e32 v4, 34, v44
	v_sub_u16_e32 v4, v18, v4
	v_lshrrev_b16_e32 v47, 13, v50
	s_waitcnt lgkmcnt(0)
	s_barrier
	global_load_dword v34, v32, s[8:9] offset:68
	global_load_dword v36, v33, s[8:9] offset:68
	;; [unrolled: 1-line block ×4, first 2 shown]
	v_lshlrev_b32_e32 v45, 2, v4
	global_load_dword v46, v45, s[8:9] offset:68
	v_mul_lo_u16_e32 v4, 34, v47
	v_sub_u16_e32 v4, v30, v4
	v_lshrrev_b16_e32 v50, 13, v61
	v_lshlrev_b32_sdwa v48, v29, v4 dst_sel:DWORD dst_unused:UNUSED_PAD src0_sel:DWORD src1_sel:BYTE_0
	global_load_dword v49, v48, s[8:9] offset:68
	v_mul_lo_u16_e32 v4, 34, v50
	v_sub_u16_e32 v4, v0, v4
	v_lshlrev_b32_sdwa v51, v29, v4 dst_sel:DWORD dst_unused:UNUSED_PAD src0_sel:DWORD src1_sel:BYTE_0
	global_load_dword v52, v51, s[8:9] offset:68
	global_load_dword v37, v17, s[8:9] offset:68
	ds_read2_b32 v[4:5], v20 offset1:119
	ds_read2_b32 v[6:7], v65 offset0:56 offset1:175
	ds_read2_b32 v[8:9], v25 offset0:110 offset1:229
	;; [unrolled: 1-line block ×5, first 2 shown]
	v_mul_u32_u24_e32 v25, 0x110, v50
	v_add3_u32 v28, 0, v25, v51
	v_mul_u32_u24_e32 v25, 0x110, v47
	v_add3_u32 v47, 0, v25, v48
	;; [unrolled: 2-line block ×4, first 2 shown]
	v_mul_u32_u24_e32 v25, 0x110, v38
	v_mul_u32_u24_e32 v16, 0x110, v16
	v_add3_u32 v38, 0, v25, v39
	v_add3_u32 v39, 0, v16, v17
	ds_read2_b32 v[16:17], v22 offset0:130 offset1:249
	v_mul_u32_u24_e32 v25, 0x110, v35
	v_add3_u32 v33, 0, v25, v33
	v_mul_u32_u24_e32 v25, 0x110, v31
	v_add3_u32 v35, 0, v25, v32
	ds_read2_b32 v[31:32], v56 offset0:20 offset1:139
	s_waitcnt vmcnt(0) lgkmcnt(0)
	s_barrier
	v_pk_mul_f16 v25, v17, v34 op_sel:[0,1]
	v_pk_fma_f16 v27, v17, v34, v25 op_sel:[0,0,1] op_sel_hi:[1,1,0] neg_lo:[0,0,1] neg_hi:[0,0,1]
	v_pk_fma_f16 v17, v17, v34, v25 op_sel:[0,0,1] op_sel_hi:[1,0,0]
	v_bfi_b32 v17, s2, v27, v17
	v_pk_add_f16 v27, v15, v17 neg_lo:[0,1] neg_hi:[0,1]
	v_pk_fma_f16 v25, v15, 2.0, v27 op_sel_hi:[1,0,1] neg_lo:[0,0,1] neg_hi:[0,0,1]
	v_pk_mul_f16 v15, v16, v36 op_sel:[0,1]
	v_pk_fma_f16 v17, v16, v36, v15 op_sel:[0,0,1] op_sel_hi:[1,1,0] neg_lo:[0,0,1] neg_hi:[0,0,1]
	v_pk_fma_f16 v15, v16, v36, v15 op_sel:[0,0,1] op_sel_hi:[1,0,0]
	v_bfi_b32 v15, s2, v17, v15
	v_pk_add_f16 v15, v14, v15 neg_lo:[0,1] neg_hi:[0,1]
	v_pk_fma_f16 v14, v14, 2.0, v15 op_sel_hi:[1,0,1] neg_lo:[0,0,1] neg_hi:[0,0,1]
                                        ; implicit-def: $vgpr34
	v_pk_mul_f16 v16, v32, v37 op_sel:[0,1]
	v_pk_fma_f16 v17, v32, v37, v16 op_sel:[0,0,1] op_sel_hi:[1,1,0] neg_lo:[0,0,1] neg_hi:[0,0,1]
	v_pk_fma_f16 v16, v32, v37, v16 op_sel:[0,0,1] op_sel_hi:[1,0,0]
	v_bfi_b32 v16, s2, v17, v16
	v_pk_mul_f16 v17, v31, v40 op_sel:[0,1]
	v_pk_fma_f16 v32, v31, v40, v17 op_sel:[0,0,1] op_sel_hi:[1,1,0] neg_lo:[0,0,1] neg_hi:[0,0,1]
	v_pk_fma_f16 v17, v31, v40, v17 op_sel:[0,0,1] op_sel_hi:[1,0,0]
	v_pk_mul_f16 v31, v43, v11 op_sel:[0,1]
	v_bfi_b32 v17, s2, v32, v17
	v_pk_fma_f16 v32, v43, v11, v31 op_sel:[0,0,1] op_sel_hi:[1,1,0] neg_lo:[0,0,1] neg_hi:[0,0,1]
	v_pk_fma_f16 v11, v43, v11, v31 op_sel:[0,0,1] op_sel_hi:[1,0,0]
	v_pk_mul_f16 v31, v46, v10 op_sel:[0,1]
	v_bfi_b32 v11, s2, v32, v11
	;; [unrolled: 4-line block ×4, first 2 shown]
	v_pk_fma_f16 v32, v52, v6, v31 op_sel:[0,0,1] op_sel_hi:[1,1,0] neg_lo:[0,0,1] neg_hi:[0,0,1]
	v_pk_fma_f16 v6, v52, v6, v31 op_sel:[0,0,1] op_sel_hi:[1,0,0]
	v_bfi_b32 v6, s2, v32, v6
	v_pk_add_f16 v10, v8, v10 neg_lo:[0,1] neg_hi:[0,1]
	v_pk_add_f16 v6, v4, v6 neg_lo:[0,1] neg_hi:[0,1]
	;; [unrolled: 1-line block ×5, first 2 shown]
	v_pk_fma_f16 v8, v8, 2.0, v10 op_sel_hi:[1,0,1] neg_lo:[0,0,1] neg_hi:[0,0,1]
	v_pk_add_f16 v7, v5, v7 neg_lo:[0,1] neg_hi:[0,1]
	v_pk_fma_f16 v4, v4, 2.0, v6 op_sel_hi:[1,0,1] neg_lo:[0,0,1] neg_hi:[0,0,1]
	v_pk_fma_f16 v13, v13, 2.0, v16 op_sel_hi:[1,0,1] neg_lo:[0,0,1] neg_hi:[0,0,1]
	;; [unrolled: 1-line block ×5, first 2 shown]
	ds_write2_b32 v28, v4, v6 offset1:34
	ds_write2_b32 v47, v5, v7 offset1:34
	;; [unrolled: 1-line block ×8, first 2 shown]
	v_add_u32_e32 v6, 0x400, v20
	v_add_u32_e32 v8, 0x800, v20
	s_waitcnt lgkmcnt(0)
	s_barrier
	ds_read2_b32 v[4:5], v20 offset1:119
	ds_read2_b32 v[6:7], v6 offset0:16 offset1:135
	ds_read2_b32 v[8:9], v8 offset0:32 offset1:151
	ds_read2_b32 v[10:11], v26 offset0:48 offset1:167
	ds_read2_b32 v[12:13], v24 offset0:64 offset1:183
	ds_read2_b32 v[14:15], v23 offset0:80 offset1:199
	ds_read2_b32 v[16:17], v22 offset0:96 offset1:215
	v_lshrrev_b32_e32 v22, 16, v25
	v_lshrrev_b32_e32 v23, 16, v27
                                        ; implicit-def: $vgpr28
                                        ; implicit-def: $vgpr24
                                        ; implicit-def: $vgpr35
                                        ; implicit-def: $vgpr33
                                        ; implicit-def: $vgpr32
                                        ; implicit-def: $vgpr31
                                        ; implicit-def: $vgpr26
	s_and_saveexec_b64 s[2:3], vcc
	s_cbranch_execz .LBB0_21
; %bb.20:
	ds_read_b32 v25, v20 offset:952
	ds_read_b32 v27, v20 offset:2040
	;; [unrolled: 1-line block ×7, first 2 shown]
	s_waitcnt lgkmcnt(6)
	v_lshrrev_b32_e32 v22, 16, v25
	s_waitcnt lgkmcnt(5)
	v_lshrrev_b32_e32 v23, 16, v27
	;; [unrolled: 2-line block ×7, first 2 shown]
.LBB0_21:
	s_or_b64 exec, exec, s[2:3]
	s_movk_i32 s2, 0x44
	v_add_u32_e32 v36, 0xffffffbc, v0
	v_cmp_gt_u32_e64 s[2:3], s2, v0
	v_cndmask_b32_e64 v48, v36, v0, s[2:3]
	v_mul_i32_i24_e32 v36, 6, v48
	v_mov_b32_e32 v37, 0
	v_lshlrev_b64 v[36:37], 2, v[36:37]
	v_mov_b32_e32 v38, s9
	v_add_co_u32_e64 v40, s[2:3], s8, v36
	v_addc_co_u32_e64 v41, s[2:3], v38, v37, s[2:3]
	s_movk_i32 s2, 0x79
	global_load_dwordx4 v[36:39], v[40:41], off offset:204
	global_load_dwordx2 v[44:45], v[40:41], off offset:220
	v_mul_lo_u16_sdwa v41, v30, s2 dst_sel:DWORD dst_unused:UNUSED_PAD src0_sel:BYTE_0 src1_sel:DWORD
	v_lshrrev_b16_e32 v49, 13, v41
	v_mul_lo_u16_e32 v41, 0x44, v49
	v_mov_b32_e32 v40, 6
	v_sub_u16_e32 v30, v30, v41
	v_mul_u32_u24_sdwa v40, v30, v40 dst_sel:DWORD dst_unused:UNUSED_PAD src0_sel:BYTE_0 src1_sel:DWORD
	v_lshlrev_b32_e32 v50, 2, v40
	global_load_dwordx4 v[40:43], v50, s[8:9] offset:204
	global_load_dwordx2 v[46:47], v50, s[8:9] offset:220
	s_waitcnt lgkmcnt(5)
	v_lshrrev_b32_e32 v54, 16, v6
	s_waitcnt lgkmcnt(4)
	v_lshrrev_b32_e32 v55, 16, v8
	;; [unrolled: 2-line block ×4, first 2 shown]
	v_lshrrev_b32_e32 v50, 16, v11
	v_lshrrev_b32_e32 v51, 16, v13
	;; [unrolled: 1-line block ×8, first 2 shown]
	s_movk_i32 s7, 0x2b26
	s_movk_i32 s4, 0x3b00
	s_mov_b32 s6, 0xbcab
	s_movk_i32 s5, 0x39e0
	s_mov_b32 s11, 0xb9e0
	;; [unrolled: 2-line block ×3, first 2 shown]
	s_movk_i32 s10, 0x370e
	s_movk_i32 s2, 0x43
	v_cmp_lt_u32_e64 s[2:3], s2, v0
	s_waitcnt vmcnt(0)
	s_barrier
	v_mul_f16_sdwa v62, v36, v54 dst_sel:DWORD dst_unused:UNUSED_PAD src0_sel:WORD_1 src1_sel:DWORD
	v_mul_f16_sdwa v63, v36, v6 dst_sel:DWORD dst_unused:UNUSED_PAD src0_sel:WORD_1 src1_sel:DWORD
	;; [unrolled: 1-line block ×12, first 2 shown]
	v_fma_f16 v6, v36, v6, -v62
	v_fma_f16 v36, v36, v54, v63
	v_fma_f16 v8, v37, v8, -v64
	v_fma_f16 v37, v37, v55, v65
	;; [unrolled: 2-line block ×4, first 2 shown]
	v_mul_f16_sdwa v58, v50, v42 dst_sel:DWORD dst_unused:UNUSED_PAD src0_sel:DWORD src1_sel:WORD_1
	v_mul_f16_sdwa v59, v11, v42 dst_sel:DWORD dst_unused:UNUSED_PAD src0_sel:DWORD src1_sel:WORD_1
	;; [unrolled: 1-line block ×4, first 2 shown]
	v_fma_f16 v10, v38, v10, -v66
	v_fma_f16 v38, v38, v56, v67
	v_fma_f16 v12, v39, v12, -v68
	v_fma_f16 v39, v39, v57, v69
	;; [unrolled: 2-line block ×4, first 2 shown]
	v_add_f16_e32 v50, v6, v16
	v_add_f16_e32 v51, v36, v45
	v_sub_f16_e32 v6, v6, v16
	v_sub_f16_e32 v16, v36, v45
	v_add_f16_e32 v36, v8, v14
	v_add_f16_e32 v45, v37, v44
	v_mul_f16_sdwa v54, v40, v60 dst_sel:DWORD dst_unused:UNUSED_PAD src0_sel:WORD_1 src1_sel:DWORD
	v_mul_f16_sdwa v55, v40, v7 dst_sel:DWORD dst_unused:UNUSED_PAD src0_sel:WORD_1 src1_sel:DWORD
	;; [unrolled: 1-line block ×4, first 2 shown]
	v_mul_f16_sdwa v64, v52, v46 dst_sel:DWORD dst_unused:UNUSED_PAD src0_sel:DWORD src1_sel:WORD_1
	v_mul_f16_sdwa v65, v15, v46 dst_sel:DWORD dst_unused:UNUSED_PAD src0_sel:DWORD src1_sel:WORD_1
	;; [unrolled: 1-line block ×4, first 2 shown]
	v_sub_f16_e32 v8, v8, v14
	v_sub_f16_e32 v14, v37, v44
	v_add_f16_e32 v37, v10, v12
	v_add_f16_e32 v44, v38, v39
	v_sub_f16_e32 v10, v12, v10
	v_sub_f16_e32 v12, v39, v38
	v_add_f16_e32 v38, v36, v50
	v_add_f16_e32 v39, v45, v51
	v_fma_f16 v7, v40, v7, -v54
	v_fma_f16 v40, v40, v60, v55
	v_fma_f16 v9, v41, v9, -v56
	v_fma_f16 v41, v41, v61, v57
	;; [unrolled: 2-line block ×4, first 2 shown]
	v_sub_f16_e32 v52, v36, v50
	v_sub_f16_e32 v53, v45, v51
	;; [unrolled: 1-line block ×6, first 2 shown]
	v_add_f16_e32 v54, v10, v8
	v_add_f16_e32 v55, v12, v14
	v_sub_f16_e32 v56, v10, v8
	v_sub_f16_e32 v57, v12, v14
	;; [unrolled: 1-line block ×4, first 2 shown]
	v_add_f16_e32 v37, v37, v38
	v_add_f16_e32 v38, v44, v39
	v_sub_f16_e32 v10, v6, v10
	v_sub_f16_e32 v12, v16, v12
	v_add_f16_e32 v6, v54, v6
	v_add_f16_e32 v16, v55, v16
	;; [unrolled: 1-line block ×3, first 2 shown]
	v_add_f16_sdwa v4, v38, v4 dst_sel:DWORD dst_unused:UNUSED_PAD src0_sel:DWORD src1_sel:WORD_1
	v_mul_f16_e32 v44, 0x3a52, v50
	v_mul_f16_e32 v50, 0x3a52, v51
	;; [unrolled: 1-line block ×8, first 2 shown]
	v_fma_f16 v37, v37, s6, v39
	v_fma_f16 v38, v38, s6, v4
	;; [unrolled: 1-line block ×4, first 2 shown]
	v_fma_f16 v51, v52, s5, -v51
	v_fma_f16 v54, v53, s5, -v54
	;; [unrolled: 1-line block ×4, first 2 shown]
	v_fma_f16 v52, v10, s14, v55
	v_fma_f16 v53, v12, s14, v56
	v_fma_f16 v8, v8, s4, -v55
	v_fma_f16 v10, v10, s15, -v57
	;; [unrolled: 1-line block ×4, first 2 shown]
	v_add_f16_e32 v36, v36, v37
	v_add_f16_e32 v45, v45, v38
	;; [unrolled: 1-line block ×6, first 2 shown]
	v_fma_f16 v44, v6, s10, v52
	v_fma_f16 v8, v6, s10, v8
	;; [unrolled: 1-line block ×6, first 2 shown]
	v_sub_f16_e32 v16, v45, v44
	v_add_f16_e32 v52, v10, v37
	v_sub_f16_e32 v53, v38, v6
	v_sub_f16_e32 v10, v37, v10
	v_add_f16_e32 v6, v6, v38
	v_add_f16_e32 v37, v44, v45
	;; [unrolled: 1-line block ×4, first 2 shown]
	v_sub_f16_e32 v7, v7, v17
	v_sub_f16_e32 v17, v40, v47
	v_add_f16_e32 v40, v9, v15
	v_add_f16_e32 v45, v41, v46
	v_sub_f16_e32 v9, v9, v15
	v_sub_f16_e32 v15, v41, v46
	v_add_f16_e32 v41, v11, v13
	v_add_f16_e32 v46, v42, v43
	;; [unrolled: 4-line block ×3, first 2 shown]
	v_add_f16_e32 v12, v50, v36
	v_sub_f16_e32 v55, v51, v14
	v_add_f16_e32 v56, v8, v54
	v_add_f16_e32 v14, v14, v51
	v_sub_f16_e32 v8, v54, v8
	v_sub_f16_e32 v36, v36, v50
	;; [unrolled: 1-line block ×8, first 2 shown]
	v_add_f16_e32 v51, v11, v9
	v_add_f16_e32 v54, v13, v15
	v_sub_f16_e32 v57, v11, v9
	v_sub_f16_e32 v58, v13, v15
	;; [unrolled: 1-line block ×3, first 2 shown]
	v_add_f16_e32 v41, v41, v42
	v_add_f16_e32 v42, v46, v43
	v_sub_f16_e32 v11, v7, v11
	v_sub_f16_e32 v13, v17, v13
	;; [unrolled: 1-line block ×3, first 2 shown]
	v_add_f16_e32 v7, v51, v7
	v_add_f16_e32 v17, v54, v17
	;; [unrolled: 1-line block ×3, first 2 shown]
	v_add_f16_sdwa v5, v42, v5 dst_sel:DWORD dst_unused:UNUSED_PAD src0_sel:DWORD src1_sel:WORD_1
	v_mul_f16_e32 v38, 0x3a52, v38
	v_mul_f16_e32 v44, 0x3a52, v44
	;; [unrolled: 1-line block ×8, first 2 shown]
	v_fma_f16 v41, v41, s6, v43
	v_fma_f16 v42, v42, s6, v5
	;; [unrolled: 1-line block ×4, first 2 shown]
	v_fma_f16 v46, v47, s5, -v46
	v_fma_f16 v51, v50, s5, -v51
	;; [unrolled: 1-line block ×4, first 2 shown]
	v_fma_f16 v47, v11, s14, v54
	v_fma_f16 v9, v9, s4, -v54
	v_fma_f16 v11, v11, s15, -v58
	v_fma_f16 v50, v13, s14, v57
	v_fma_f16 v13, v13, s15, -v59
	v_add_f16_e32 v40, v40, v41
	v_add_f16_e32 v45, v45, v42
	;; [unrolled: 1-line block ×6, first 2 shown]
	v_fma_f16 v42, v7, s10, v47
	v_fma_f16 v9, v7, s10, v9
	;; [unrolled: 1-line block ×3, first 2 shown]
	v_fma_f16 v15, v15, s4, -v57
	v_fma_f16 v44, v17, s10, v50
	v_fma_f16 v11, v17, s10, v13
	v_sub_f16_e32 v50, v41, v7
	v_add_f16_e32 v7, v7, v41
	v_mov_b32_e32 v41, 0x770
	v_fma_f16 v15, v17, s10, v15
	v_add_f16_e32 v13, v44, v40
	v_sub_f16_e32 v17, v45, v42
	v_add_f16_e32 v47, v11, v38
	v_sub_f16_e32 v11, v38, v11
	v_sub_f16_e32 v38, v40, v44
	v_add_f16_e32 v40, v42, v45
	v_cndmask_b32_e64 v41, 0, v41, s[2:3]
	v_lshlrev_b32_e32 v42, 2, v48
	v_add3_u32 v41, 0, v41, v42
	v_pack_b32_f16 v4, v39, v4
	v_pack_b32_f16 v12, v12, v16
	ds_write2_b32 v41, v4, v12 offset1:68
	v_pack_b32_f16 v4, v52, v53
	v_pack_b32_f16 v12, v55, v56
	ds_write2_b32 v41, v4, v12 offset0:136 offset1:204
	v_pack_b32_f16 v4, v14, v8
	v_pack_b32_f16 v6, v10, v6
	v_add_u32_e32 v8, 0x400, v41
	ds_write2_b32 v8, v4, v6 offset0:16 offset1:84
	v_pack_b32_f16 v4, v36, v37
	ds_write_b32 v41, v4 offset:1632
	v_mul_u32_u24_e32 v4, 0x770, v49
	v_lshlrev_b32_sdwa v6, v29, v30 dst_sel:DWORD dst_unused:UNUSED_PAD src0_sel:DWORD src1_sel:BYTE_0
	v_sub_f16_e32 v54, v46, v15
	v_add_f16_e32 v57, v9, v51
	v_add3_u32 v4, 0, v4, v6
	v_pack_b32_f16 v5, v43, v5
	v_pack_b32_f16 v6, v13, v17
	v_add_f16_e32 v15, v15, v46
	v_sub_f16_e32 v9, v51, v9
	ds_write2_b32 v4, v5, v6 offset1:68
	v_pack_b32_f16 v5, v47, v50
	v_pack_b32_f16 v6, v54, v57
	ds_write2_b32 v4, v5, v6 offset0:136 offset1:204
	v_pack_b32_f16 v5, v15, v9
	v_pack_b32_f16 v6, v11, v7
	v_add_u32_e32 v7, 0x400, v4
	ds_write2_b32 v7, v5, v6 offset0:16 offset1:84
	v_pack_b32_f16 v5, v38, v40
	ds_write_b32 v4, v5 offset:1632
	s_and_saveexec_b64 s[2:3], vcc
	s_cbranch_execz .LBB0_23
; %bb.22:
	v_lshrrev_b32_e32 v4, 22, v19
	v_mul_lo_u16_e32 v4, 0x44, v4
	v_sub_u16_e32 v10, v18, v4
	v_mul_u32_u24_e32 v4, 6, v10
	v_lshlrev_b32_e32 v11, 2, v4
	global_load_dwordx4 v[4:7], v11, s[8:9] offset:204
	global_load_dwordx2 v[8:9], v11, s[8:9] offset:220
	v_lshl_add_u32 v10, v10, 2, 0
	s_waitcnt vmcnt(1)
	v_mul_f16_sdwa v11, v23, v4 dst_sel:DWORD dst_unused:UNUSED_PAD src0_sel:DWORD src1_sel:WORD_1
	s_waitcnt vmcnt(0)
	v_mul_f16_sdwa v12, v35, v9 dst_sel:DWORD dst_unused:UNUSED_PAD src0_sel:DWORD src1_sel:WORD_1
	v_mul_f16_sdwa v15, v21, v5 dst_sel:DWORD dst_unused:UNUSED_PAD src0_sel:DWORD src1_sel:WORD_1
	;; [unrolled: 1-line block ×11, first 2 shown]
	v_fma_f16 v11, v27, v4, -v11
	v_fma_f16 v12, v33, v9, -v12
	;; [unrolled: 1-line block ×4, first 2 shown]
	v_fma_f16 v9, v35, v9, v17
	v_fma_f16 v4, v23, v4, v18
	;; [unrolled: 1-line block ×4, first 2 shown]
	v_fma_f16 v13, v24, v7, -v13
	v_fma_f16 v14, v26, v6, -v14
	v_fma_f16 v6, v34, v6, v19
	v_fma_f16 v7, v28, v7, v29
	v_sub_f16_e32 v16, v11, v12
	v_sub_f16_e32 v18, v1, v15
	v_add_f16_e32 v19, v4, v9
	v_add_f16_e32 v23, v5, v8
	;; [unrolled: 1-line block ×4, first 2 shown]
	v_sub_f16_e32 v17, v13, v14
	v_add_f16_e32 v21, v6, v7
	v_add_f16_e32 v12, v14, v13
	v_sub_f16_e32 v4, v4, v9
	v_sub_f16_e32 v6, v7, v6
	;; [unrolled: 1-line block ×3, first 2 shown]
	v_add_f16_e32 v15, v23, v19
	v_add_f16_e32 v26, v1, v11
	v_sub_f16_e32 v7, v16, v17
	v_sub_f16_e32 v8, v17, v18
	v_add_f16_e32 v9, v17, v18
	v_sub_f16_e32 v13, v19, v21
	v_sub_f16_e32 v14, v21, v23
	v_sub_f16_e32 v17, v11, v12
	v_sub_f16_e32 v24, v12, v1
	v_sub_f16_e32 v27, v4, v6
	v_sub_f16_e32 v28, v6, v5
	v_add_f16_e32 v6, v6, v5
	v_sub_f16_e32 v18, v18, v16
	v_sub_f16_e32 v5, v5, v4
	v_add_f16_e32 v15, v21, v15
	v_add_f16_e32 v12, v12, v26
	v_sub_f16_e32 v19, v23, v19
	v_sub_f16_e32 v1, v1, v11
	v_mul_f16_e32 v8, 0xb846, v8
	v_add_f16_e32 v9, v9, v16
	v_mul_f16_e32 v11, 0x3a52, v13
	v_mul_f16_e32 v13, 0x2b26, v14
	;; [unrolled: 1-line block ×5, first 2 shown]
	v_add_f16_e32 v4, v6, v4
	v_mul_f16_e32 v6, 0x3b00, v18
	v_mul_f16_e32 v23, 0x3b00, v5
	v_add_f16_e32 v22, v22, v15
	v_add_f16_e32 v25, v25, v12
	v_fma_f16 v26, v7, s14, v8
	v_fma_f16 v14, v14, s7, v11
	;; [unrolled: 1-line block ×4, first 2 shown]
	v_fma_f16 v6, v7, s15, -v6
	v_fma_f16 v7, v19, s11, -v11
	;; [unrolled: 1-line block ×4, first 2 shown]
	v_fma_f16 v15, v15, s6, v22
	v_fma_f16 v12, v12, s6, v25
	v_fma_f16 v13, v19, s5, -v13
	v_fma_f16 v8, v18, s4, -v8
	;; [unrolled: 1-line block ×4, first 2 shown]
	v_fma_f16 v23, v9, s10, v26
	v_fma_f16 v26, v4, s10, v28
	;; [unrolled: 1-line block ×4, first 2 shown]
	v_add_f16_e32 v7, v7, v15
	v_add_f16_e32 v11, v11, v12
	;; [unrolled: 1-line block ×3, first 2 shown]
	v_fma_f16 v8, v9, s10, v8
	v_fma_f16 v4, v4, s10, v5
	v_add_f16_e32 v1, v1, v12
	v_add_f16_e32 v29, v6, v7
	v_sub_f16_e32 v9, v13, v8
	v_add_f16_e32 v5, v4, v1
	v_add_f16_e32 v8, v8, v13
	v_sub_f16_e32 v1, v1, v4
	v_sub_f16_e32 v4, v7, v6
	v_add_f16_e32 v6, v16, v11
	v_add_f16_e32 v14, v14, v15
	;; [unrolled: 1-line block ×3, first 2 shown]
	v_sub_f16_e32 v30, v11, v16
	v_pack_b32_f16 v4, v6, v4
	v_pack_b32_f16 v1, v1, v8
	v_add_u32_e32 v6, 0x1800, v10
	v_add_f16_e32 v27, v23, v14
	v_sub_f16_e32 v28, v24, v26
	v_sub_f16_e32 v7, v14, v23
	v_add_f16_e32 v11, v26, v24
	ds_write2_b32 v6, v4, v1 offset0:28 offset1:96
	v_pack_b32_f16 v1, v5, v9
	v_pack_b32_f16 v4, v30, v29
	;; [unrolled: 1-line block ×4, first 2 shown]
	v_add_u32_e32 v11, 0x1400, v10
	ds_write2_b32 v6, v1, v4 offset0:164 offset1:232
	v_pack_b32_f16 v1, v28, v27
	ds_write2_b32 v11, v12, v7 offset0:148 offset1:216
	ds_write_b32 v10, v1 offset:7344
.LBB0_23:
	s_or_b64 exec, exec, s[2:3]
	v_mul_u32_u24_e32 v1, 3, v0
	v_lshlrev_b32_e32 v1, 2, v1
	s_waitcnt lgkmcnt(0)
	s_barrier
	global_load_dwordx3 v[4:6], v1, s[8:9] offset:1836
	global_load_dwordx3 v[7:9], v1, s[8:9] offset:3264
	v_mov_b32_e32 v10, s9
	v_add_co_u32_e32 v1, vcc, s8, v1
	s_movk_i32 s2, 0x1000
	v_addc_co_u32_e32 v10, vcc, 0, v10, vcc
	v_add_co_u32_e32 v16, vcc, s2, v1
	v_addc_co_u32_e32 v17, vcc, 0, v10, vcc
	global_load_dwordx3 v[10:12], v[16:17], off offset:596
	global_load_dwordx3 v[13:15], v[16:17], off offset:2024
	v_add_u32_e32 v1, 0x600, v20
	ds_read2_b32 v[16:17], v20 offset1:119
	v_add_u32_e32 v33, 0xe00, v20
	v_add_u32_e32 v34, 0x1600, v20
	;; [unrolled: 1-line block ×6, first 2 shown]
	ds_read2_b32 v[18:19], v1 offset0:92 offset1:211
	ds_read2_b32 v[21:22], v33 offset0:56 offset1:175
	;; [unrolled: 1-line block ×7, first 2 shown]
	s_waitcnt lgkmcnt(5)
	v_lshrrev_b32_e32 v39, 16, v22
	s_waitcnt lgkmcnt(4)
	v_lshrrev_b32_e32 v40, 16, v24
	;; [unrolled: 2-line block ×5, first 2 shown]
	v_lshrrev_b32_e32 v47, 16, v18
	v_lshrrev_b32_e32 v48, 16, v21
	;; [unrolled: 1-line block ×7, first 2 shown]
	s_waitcnt vmcnt(0)
	s_barrier
	v_mul_f16_sdwa v51, v4, v47 dst_sel:DWORD dst_unused:UNUSED_PAD src0_sel:WORD_1 src1_sel:DWORD
	v_mul_f16_sdwa v59, v39, v8 dst_sel:DWORD dst_unused:UNUSED_PAD src0_sel:DWORD src1_sel:WORD_1
	v_mul_f16_sdwa v60, v22, v8 dst_sel:DWORD dst_unused:UNUSED_PAD src0_sel:DWORD src1_sel:WORD_1
	;; [unrolled: 1-line block ×4, first 2 shown]
	v_fma_f16 v22, v22, v8, -v59
	v_fma_f16 v8, v39, v8, v60
	v_fma_f16 v24, v24, v9, -v61
	v_fma_f16 v9, v40, v9, v62
	v_mul_f16_sdwa v52, v4, v18 dst_sel:DWORD dst_unused:UNUSED_PAD src0_sel:WORD_1 src1_sel:DWORD
	v_mul_f16_sdwa v53, v5, v48 dst_sel:DWORD dst_unused:UNUSED_PAD src0_sel:WORD_1 src1_sel:DWORD
	v_mul_f16_sdwa v39, v41, v10 dst_sel:DWORD dst_unused:UNUSED_PAD src0_sel:DWORD src1_sel:WORD_1
	v_mul_f16_sdwa v40, v27, v10 dst_sel:DWORD dst_unused:UNUSED_PAD src0_sel:DWORD src1_sel:WORD_1
	v_fma_f16 v27, v27, v10, -v39
	v_mul_f16_sdwa v39, v45, v14 dst_sel:DWORD dst_unused:UNUSED_PAD src0_sel:DWORD src1_sel:WORD_1
	v_fma_f16 v39, v30, v14, -v39
	v_mul_f16_sdwa v30, v30, v14 dst_sel:DWORD dst_unused:UNUSED_PAD src0_sel:DWORD src1_sel:WORD_1
	v_fma_f16 v14, v45, v14, v30
	v_mul_f16_sdwa v30, v46, v15 dst_sel:DWORD dst_unused:UNUSED_PAD src0_sel:DWORD src1_sel:WORD_1
	v_mul_f16_sdwa v54, v5, v21 dst_sel:DWORD dst_unused:UNUSED_PAD src0_sel:WORD_1 src1_sel:DWORD
	v_mul_f16_sdwa v55, v6, v49 dst_sel:DWORD dst_unused:UNUSED_PAD src0_sel:WORD_1 src1_sel:DWORD
	;; [unrolled: 1-line block ×5, first 2 shown]
	v_fma_f16 v30, v32, v15, -v30
	v_mul_f16_sdwa v32, v32, v15 dst_sel:DWORD dst_unused:UNUSED_PAD src0_sel:DWORD src1_sel:WORD_1
	v_fma_f16 v18, v4, v18, -v51
	v_fma_f16 v4, v4, v47, v52
	v_fma_f16 v21, v5, v21, -v53
	v_fma_f16 v5, v5, v48, v54
	;; [unrolled: 2-line block ×4, first 2 shown]
	v_fma_f16 v10, v41, v10, v40
	v_fma_f16 v15, v46, v15, v32
	v_lshrrev_b32_e32 v32, 16, v16
	v_lshrrev_b32_e32 v40, 16, v17
	v_mul_f16_sdwa v47, v42, v11 dst_sel:DWORD dst_unused:UNUSED_PAD src0_sel:DWORD src1_sel:WORD_1
	v_mul_f16_sdwa v48, v29, v11 dst_sel:DWORD dst_unused:UNUSED_PAD src0_sel:DWORD src1_sel:WORD_1
	;; [unrolled: 1-line block ×6, first 2 shown]
	v_sub_f16_e32 v21, v16, v21
	v_sub_f16_e32 v5, v32, v5
	;; [unrolled: 1-line block ×8, first 2 shown]
	v_fma_f16 v29, v29, v11, -v47
	v_fma_f16 v11, v42, v11, v48
	v_fma_f16 v31, v31, v12, -v49
	v_fma_f16 v12, v43, v12, v50
	;; [unrolled: 2-line block ×3, first 2 shown]
	v_fma_f16 v18, v18, 2.0, -v23
	v_fma_f16 v4, v4, 2.0, -v6
	v_sub_f16_e32 v6, v21, v6
	v_add_f16_e32 v23, v5, v23
	v_fma_f16 v19, v19, 2.0, -v24
	v_fma_f16 v7, v7, 2.0, -v9
	v_sub_f16_e32 v9, v22, v9
	v_add_f16_e32 v24, v8, v24
	v_lshrrev_b32_e32 v41, 16, v25
	v_lshrrev_b32_e32 v42, 16, v26
	v_fma_f16 v16, v16, 2.0, -v21
	v_fma_f16 v32, v32, 2.0, -v5
	;; [unrolled: 1-line block ×8, first 2 shown]
	v_sub_f16_e32 v29, v25, v29
	v_sub_f16_e32 v11, v41, v11
	;; [unrolled: 1-line block ×12, first 2 shown]
	v_fma_f16 v25, v25, 2.0, -v29
	v_fma_f16 v41, v41, 2.0, -v11
	;; [unrolled: 1-line block ×8, first 2 shown]
	v_pack_b32_f16 v5, v21, v5
	v_pack_b32_f16 v8, v22, v8
	v_fma_f16 v32, v32, 2.0, -v4
	v_sub_f16_e32 v27, v25, v27
	v_sub_f16_e32 v10, v41, v10
	v_sub_f16_e32 v28, v26, v28
	v_sub_f16_e32 v13, v42, v13
	v_pack_b32_f16 v4, v18, v4
	ds_write2_b32 v1, v5, v8 offset0:92 offset1:211
	v_pack_b32_f16 v1, v19, v7
	v_fma_f16 v25, v25, 2.0, -v27
	v_fma_f16 v41, v41, 2.0, -v10
	v_sub_f16_e32 v12, v29, v12
	v_add_f16_e32 v31, v11, v31
	v_fma_f16 v26, v26, 2.0, -v28
	v_fma_f16 v42, v42, 2.0, -v13
	v_sub_f16_e32 v15, v39, v15
	v_add_f16_e32 v30, v14, v30
	v_pack_b32_f16 v6, v6, v23
	ds_write2_b32 v33, v4, v1 offset0:56 offset1:175
	v_pack_b32_f16 v1, v9, v24
	v_fma_f16 v40, v40, 2.0, -v7
	v_fma_f16 v29, v29, 2.0, -v12
	;; [unrolled: 1-line block ×5, first 2 shown]
	ds_write2_b32 v34, v6, v1 offset0:20 offset1:139
	v_pack_b32_f16 v1, v25, v41
	v_pack_b32_f16 v7, v26, v42
	;; [unrolled: 1-line block ×3, first 2 shown]
	ds_write2_b32 v35, v1, v7 offset0:110 offset1:229
	v_pack_b32_f16 v1, v39, v14
	v_fma_f16 v16, v16, 2.0, -v18
	v_fma_f16 v17, v17, 2.0, -v19
	v_pack_b32_f16 v5, v27, v10
	ds_write2_b32 v36, v4, v1 offset0:74 offset1:193
	v_pack_b32_f16 v1, v28, v13
	v_pack_b32_f16 v16, v16, v32
	;; [unrolled: 1-line block ×4, first 2 shown]
	ds_write2_b32 v37, v5, v1 offset0:38 offset1:157
	v_pack_b32_f16 v1, v15, v30
	ds_write2_b32 v20, v16, v17 offset1:119
	ds_write2_b32 v38, v6, v1 offset0:130 offset1:249
	s_waitcnt lgkmcnt(0)
	s_barrier
	s_and_saveexec_b64 s[2:3], s[0:1]
	s_cbranch_execz .LBB0_25
; %bb.24:
	v_lshl_add_u32 v6, v0, 2, 0
	v_mov_b32_e32 v1, 0
	ds_read2_b32 v[4:5], v6 offset1:119
	v_mov_b32_e32 v7, s13
	v_add_co_u32_e32 v8, vcc, s12, v2
	v_addc_co_u32_e32 v7, vcc, v7, v3, vcc
	v_lshlrev_b64 v[2:3], 2, v[0:1]
	v_add_co_u32_e32 v2, vcc, v8, v2
	v_addc_co_u32_e32 v3, vcc, v7, v3, vcc
	s_waitcnt lgkmcnt(0)
	global_store_dword v[2:3], v4, off
	v_add_u32_e32 v2, 0x77, v0
	v_mov_b32_e32 v3, v1
	v_lshlrev_b64 v[2:3], 2, v[2:3]
	v_add_u32_e32 v4, 0x200, v6
	v_add_co_u32_e32 v2, vcc, v8, v2
	v_addc_co_u32_e32 v3, vcc, v7, v3, vcc
	global_store_dword v[2:3], v5, off
	v_add_u32_e32 v2, 0xee, v0
	v_mov_b32_e32 v3, v1
	ds_read2_b32 v[4:5], v4 offset0:110 offset1:229
	v_lshlrev_b64 v[2:3], 2, v[2:3]
	v_add_co_u32_e32 v2, vcc, v8, v2
	v_addc_co_u32_e32 v3, vcc, v7, v3, vcc
	s_waitcnt lgkmcnt(0)
	global_store_dword v[2:3], v4, off
	v_add_u32_e32 v2, 0x165, v0
	v_mov_b32_e32 v3, v1
	v_lshlrev_b64 v[2:3], 2, v[2:3]
	v_add_u32_e32 v4, 0x600, v6
	v_add_co_u32_e32 v2, vcc, v8, v2
	v_addc_co_u32_e32 v3, vcc, v7, v3, vcc
	global_store_dword v[2:3], v5, off
	v_add_u32_e32 v2, 0x1dc, v0
	v_mov_b32_e32 v3, v1
	ds_read2_b32 v[4:5], v4 offset0:92 offset1:211
	;; [unrolled: 15-line block ×6, first 2 shown]
	v_lshlrev_b64 v[2:3], 2, v[2:3]
	v_add_co_u32_e32 v2, vcc, v8, v2
	v_addc_co_u32_e32 v3, vcc, v7, v3, vcc
	s_waitcnt lgkmcnt(0)
	global_store_dword v[2:3], v4, off
	v_add_u32_e32 v2, 0x60b, v0
	v_mov_b32_e32 v3, v1
	v_lshlrev_b64 v[2:3], 2, v[2:3]
	v_add_u32_e32 v4, 0x1800, v6
	v_add_co_u32_e32 v2, vcc, v8, v2
	v_addc_co_u32_e32 v3, vcc, v7, v3, vcc
	global_store_dword v[2:3], v5, off
	v_add_u32_e32 v2, 0x682, v0
	v_mov_b32_e32 v3, v1
	v_lshlrev_b64 v[2:3], 2, v[2:3]
	ds_read2_b32 v[4:5], v4 offset0:130 offset1:249
	v_add_u32_e32 v0, 0x6f9, v0
	v_add_co_u32_e32 v2, vcc, v8, v2
	v_lshlrev_b64 v[0:1], 2, v[0:1]
	v_addc_co_u32_e32 v3, vcc, v7, v3, vcc
	v_add_co_u32_e32 v0, vcc, v8, v0
	v_addc_co_u32_e32 v1, vcc, v7, v1, vcc
	s_waitcnt lgkmcnt(0)
	global_store_dword v[2:3], v4, off
	global_store_dword v[0:1], v5, off
.LBB0_25:
	s_endpgm
	.section	.rodata,"a",@progbits
	.p2align	6, 0x0
	.amdhsa_kernel fft_rtc_fwd_len1904_factors_17_2_2_7_4_wgs_119_tpt_119_halfLds_half_ip_CI_unitstride_sbrr_C2R_dirReg
		.amdhsa_group_segment_fixed_size 0
		.amdhsa_private_segment_fixed_size 0
		.amdhsa_kernarg_size 88
		.amdhsa_user_sgpr_count 6
		.amdhsa_user_sgpr_private_segment_buffer 1
		.amdhsa_user_sgpr_dispatch_ptr 0
		.amdhsa_user_sgpr_queue_ptr 0
		.amdhsa_user_sgpr_kernarg_segment_ptr 1
		.amdhsa_user_sgpr_dispatch_id 0
		.amdhsa_user_sgpr_flat_scratch_init 0
		.amdhsa_user_sgpr_private_segment_size 0
		.amdhsa_uses_dynamic_stack 0
		.amdhsa_system_sgpr_private_segment_wavefront_offset 0
		.amdhsa_system_sgpr_workgroup_id_x 1
		.amdhsa_system_sgpr_workgroup_id_y 0
		.amdhsa_system_sgpr_workgroup_id_z 0
		.amdhsa_system_sgpr_workgroup_info 0
		.amdhsa_system_vgpr_workitem_id 0
		.amdhsa_next_free_vgpr 155
		.amdhsa_next_free_sgpr 34
		.amdhsa_reserve_vcc 1
		.amdhsa_reserve_flat_scratch 0
		.amdhsa_float_round_mode_32 0
		.amdhsa_float_round_mode_16_64 0
		.amdhsa_float_denorm_mode_32 3
		.amdhsa_float_denorm_mode_16_64 3
		.amdhsa_dx10_clamp 1
		.amdhsa_ieee_mode 1
		.amdhsa_fp16_overflow 0
		.amdhsa_exception_fp_ieee_invalid_op 0
		.amdhsa_exception_fp_denorm_src 0
		.amdhsa_exception_fp_ieee_div_zero 0
		.amdhsa_exception_fp_ieee_overflow 0
		.amdhsa_exception_fp_ieee_underflow 0
		.amdhsa_exception_fp_ieee_inexact 0
		.amdhsa_exception_int_div_zero 0
	.end_amdhsa_kernel
	.text
.Lfunc_end0:
	.size	fft_rtc_fwd_len1904_factors_17_2_2_7_4_wgs_119_tpt_119_halfLds_half_ip_CI_unitstride_sbrr_C2R_dirReg, .Lfunc_end0-fft_rtc_fwd_len1904_factors_17_2_2_7_4_wgs_119_tpt_119_halfLds_half_ip_CI_unitstride_sbrr_C2R_dirReg
                                        ; -- End function
	.section	.AMDGPU.csdata,"",@progbits
; Kernel info:
; codeLenInByte = 14560
; NumSgprs: 38
; NumVgprs: 155
; ScratchSize: 0
; MemoryBound: 0
; FloatMode: 240
; IeeeMode: 1
; LDSByteSize: 0 bytes/workgroup (compile time only)
; SGPRBlocks: 4
; VGPRBlocks: 38
; NumSGPRsForWavesPerEU: 38
; NumVGPRsForWavesPerEU: 155
; Occupancy: 1
; WaveLimiterHint : 1
; COMPUTE_PGM_RSRC2:SCRATCH_EN: 0
; COMPUTE_PGM_RSRC2:USER_SGPR: 6
; COMPUTE_PGM_RSRC2:TRAP_HANDLER: 0
; COMPUTE_PGM_RSRC2:TGID_X_EN: 1
; COMPUTE_PGM_RSRC2:TGID_Y_EN: 0
; COMPUTE_PGM_RSRC2:TGID_Z_EN: 0
; COMPUTE_PGM_RSRC2:TIDIG_COMP_CNT: 0
	.type	__hip_cuid_c2437ce33f1e9c90,@object ; @__hip_cuid_c2437ce33f1e9c90
	.section	.bss,"aw",@nobits
	.globl	__hip_cuid_c2437ce33f1e9c90
__hip_cuid_c2437ce33f1e9c90:
	.byte	0                               ; 0x0
	.size	__hip_cuid_c2437ce33f1e9c90, 1

	.ident	"AMD clang version 19.0.0git (https://github.com/RadeonOpenCompute/llvm-project roc-6.4.0 25133 c7fe45cf4b819c5991fe208aaa96edf142730f1d)"
	.section	".note.GNU-stack","",@progbits
	.addrsig
	.addrsig_sym __hip_cuid_c2437ce33f1e9c90
	.amdgpu_metadata
---
amdhsa.kernels:
  - .args:
      - .actual_access:  read_only
        .address_space:  global
        .offset:         0
        .size:           8
        .value_kind:     global_buffer
      - .offset:         8
        .size:           8
        .value_kind:     by_value
      - .actual_access:  read_only
        .address_space:  global
        .offset:         16
        .size:           8
        .value_kind:     global_buffer
      - .actual_access:  read_only
        .address_space:  global
        .offset:         24
        .size:           8
        .value_kind:     global_buffer
      - .offset:         32
        .size:           8
        .value_kind:     by_value
      - .actual_access:  read_only
        .address_space:  global
        .offset:         40
        .size:           8
        .value_kind:     global_buffer
      - .actual_access:  read_only
        .address_space:  global
        .offset:         48
        .size:           8
        .value_kind:     global_buffer
      - .offset:         56
        .size:           4
        .value_kind:     by_value
      - .actual_access:  read_only
        .address_space:  global
        .offset:         64
        .size:           8
        .value_kind:     global_buffer
      - .actual_access:  read_only
        .address_space:  global
        .offset:         72
        .size:           8
        .value_kind:     global_buffer
      - .address_space:  global
        .offset:         80
        .size:           8
        .value_kind:     global_buffer
    .group_segment_fixed_size: 0
    .kernarg_segment_align: 8
    .kernarg_segment_size: 88
    .language:       OpenCL C
    .language_version:
      - 2
      - 0
    .max_flat_workgroup_size: 119
    .name:           fft_rtc_fwd_len1904_factors_17_2_2_7_4_wgs_119_tpt_119_halfLds_half_ip_CI_unitstride_sbrr_C2R_dirReg
    .private_segment_fixed_size: 0
    .sgpr_count:     38
    .sgpr_spill_count: 0
    .symbol:         fft_rtc_fwd_len1904_factors_17_2_2_7_4_wgs_119_tpt_119_halfLds_half_ip_CI_unitstride_sbrr_C2R_dirReg.kd
    .uniform_work_group_size: 1
    .uses_dynamic_stack: false
    .vgpr_count:     155
    .vgpr_spill_count: 0
    .wavefront_size: 64
amdhsa.target:   amdgcn-amd-amdhsa--gfx906
amdhsa.version:
  - 1
  - 2
...

	.end_amdgpu_metadata
